;; amdgpu-corpus repo=ROCm/rocFFT kind=compiled arch=gfx906 opt=O3
	.text
	.amdgcn_target "amdgcn-amd-amdhsa--gfx906"
	.amdhsa_code_object_version 6
	.protected	fft_rtc_fwd_len952_factors_17_4_2_7_wgs_204_tpt_68_halfLds_half_ip_CI_unitstride_sbrr_R2C_dirReg ; -- Begin function fft_rtc_fwd_len952_factors_17_4_2_7_wgs_204_tpt_68_halfLds_half_ip_CI_unitstride_sbrr_R2C_dirReg
	.globl	fft_rtc_fwd_len952_factors_17_4_2_7_wgs_204_tpt_68_halfLds_half_ip_CI_unitstride_sbrr_R2C_dirReg
	.p2align	8
	.type	fft_rtc_fwd_len952_factors_17_4_2_7_wgs_204_tpt_68_halfLds_half_ip_CI_unitstride_sbrr_R2C_dirReg,@function
fft_rtc_fwd_len952_factors_17_4_2_7_wgs_204_tpt_68_halfLds_half_ip_CI_unitstride_sbrr_R2C_dirReg: ; @fft_rtc_fwd_len952_factors_17_4_2_7_wgs_204_tpt_68_halfLds_half_ip_CI_unitstride_sbrr_R2C_dirReg
; %bb.0:
	s_load_dwordx2 s[2:3], s[4:5], 0x50
	s_load_dwordx4 s[8:11], s[4:5], 0x0
	s_load_dwordx2 s[12:13], s[4:5], 0x18
	v_mul_u32_u24_e32 v1, 0x3c4, v0
	v_lshrrev_b32_e32 v1, 16, v1
	v_mad_u64_u32 v[1:2], s[0:1], s6, 3, v[1:2]
	v_mov_b32_e32 v5, 0
	s_waitcnt lgkmcnt(0)
	v_cmp_lt_u64_e64 s[0:1], s[10:11], 2
	v_mov_b32_e32 v2, v5
	v_mov_b32_e32 v3, 0
	;; [unrolled: 1-line block ×3, first 2 shown]
	s_and_b64 vcc, exec, s[0:1]
	v_mov_b32_e32 v4, 0
	v_mov_b32_e32 v9, v1
	s_cbranch_vccnz .LBB0_8
; %bb.1:
	s_load_dwordx2 s[0:1], s[4:5], 0x10
	s_add_u32 s6, s12, 8
	s_addc_u32 s7, s13, 0
	v_mov_b32_e32 v3, 0
	v_mov_b32_e32 v8, v2
	s_waitcnt lgkmcnt(0)
	s_add_u32 s16, s0, 8
	s_mov_b64 s[14:15], 1
	v_mov_b32_e32 v4, 0
	s_addc_u32 s17, s1, 0
	v_mov_b32_e32 v7, v1
.LBB0_2:                                ; =>This Inner Loop Header: Depth=1
	s_load_dwordx2 s[18:19], s[16:17], 0x0
                                        ; implicit-def: $vgpr9_vgpr10
	s_waitcnt lgkmcnt(0)
	v_or_b32_e32 v6, s19, v8
	v_cmp_ne_u64_e32 vcc, 0, v[5:6]
	s_and_saveexec_b64 s[0:1], vcc
	s_xor_b64 s[20:21], exec, s[0:1]
	s_cbranch_execz .LBB0_4
; %bb.3:                                ;   in Loop: Header=BB0_2 Depth=1
	v_cvt_f32_u32_e32 v2, s18
	v_cvt_f32_u32_e32 v6, s19
	s_sub_u32 s0, 0, s18
	s_subb_u32 s1, 0, s19
	v_mac_f32_e32 v2, 0x4f800000, v6
	v_rcp_f32_e32 v2, v2
	v_mul_f32_e32 v2, 0x5f7ffffc, v2
	v_mul_f32_e32 v6, 0x2f800000, v2
	v_trunc_f32_e32 v6, v6
	v_mac_f32_e32 v2, 0xcf800000, v6
	v_cvt_u32_f32_e32 v6, v6
	v_cvt_u32_f32_e32 v2, v2
	v_mul_lo_u32 v9, s0, v6
	v_mul_hi_u32 v10, s0, v2
	v_mul_lo_u32 v12, s1, v2
	v_mul_lo_u32 v11, s0, v2
	v_add_u32_e32 v9, v10, v9
	v_add_u32_e32 v9, v9, v12
	v_mul_hi_u32 v10, v2, v11
	v_mul_lo_u32 v12, v2, v9
	v_mul_hi_u32 v14, v2, v9
	v_mul_hi_u32 v13, v6, v11
	v_mul_lo_u32 v11, v6, v11
	v_mul_hi_u32 v15, v6, v9
	v_add_co_u32_e32 v10, vcc, v10, v12
	v_addc_co_u32_e32 v12, vcc, 0, v14, vcc
	v_mul_lo_u32 v9, v6, v9
	v_add_co_u32_e32 v10, vcc, v10, v11
	v_addc_co_u32_e32 v10, vcc, v12, v13, vcc
	v_addc_co_u32_e32 v11, vcc, 0, v15, vcc
	v_add_co_u32_e32 v9, vcc, v10, v9
	v_addc_co_u32_e32 v10, vcc, 0, v11, vcc
	v_add_co_u32_e32 v2, vcc, v2, v9
	v_addc_co_u32_e32 v6, vcc, v6, v10, vcc
	v_mul_lo_u32 v9, s0, v6
	v_mul_hi_u32 v10, s0, v2
	v_mul_lo_u32 v11, s1, v2
	v_mul_lo_u32 v12, s0, v2
	v_add_u32_e32 v9, v10, v9
	v_add_u32_e32 v9, v9, v11
	v_mul_lo_u32 v13, v2, v9
	v_mul_hi_u32 v14, v2, v12
	v_mul_hi_u32 v15, v2, v9
	;; [unrolled: 1-line block ×3, first 2 shown]
	v_mul_lo_u32 v12, v6, v12
	v_mul_hi_u32 v10, v6, v9
	v_add_co_u32_e32 v13, vcc, v14, v13
	v_addc_co_u32_e32 v14, vcc, 0, v15, vcc
	v_mul_lo_u32 v9, v6, v9
	v_add_co_u32_e32 v12, vcc, v13, v12
	v_addc_co_u32_e32 v11, vcc, v14, v11, vcc
	v_addc_co_u32_e32 v10, vcc, 0, v10, vcc
	v_add_co_u32_e32 v9, vcc, v11, v9
	v_addc_co_u32_e32 v10, vcc, 0, v10, vcc
	v_add_co_u32_e32 v2, vcc, v2, v9
	v_addc_co_u32_e32 v6, vcc, v6, v10, vcc
	v_mad_u64_u32 v[9:10], s[0:1], v7, v6, 0
	v_mul_hi_u32 v11, v7, v2
	v_add_co_u32_e32 v13, vcc, v11, v9
	v_addc_co_u32_e32 v14, vcc, 0, v10, vcc
	v_mad_u64_u32 v[9:10], s[0:1], v8, v2, 0
	v_mad_u64_u32 v[11:12], s[0:1], v8, v6, 0
	v_add_co_u32_e32 v2, vcc, v13, v9
	v_addc_co_u32_e32 v2, vcc, v14, v10, vcc
	v_addc_co_u32_e32 v6, vcc, 0, v12, vcc
	v_add_co_u32_e32 v2, vcc, v2, v11
	v_addc_co_u32_e32 v6, vcc, 0, v6, vcc
	v_mul_lo_u32 v11, s19, v2
	v_mul_lo_u32 v12, s18, v6
	v_mad_u64_u32 v[9:10], s[0:1], s18, v2, 0
	v_add3_u32 v10, v10, v12, v11
	v_sub_u32_e32 v11, v8, v10
	v_mov_b32_e32 v12, s19
	v_sub_co_u32_e32 v9, vcc, v7, v9
	v_subb_co_u32_e64 v11, s[0:1], v11, v12, vcc
	v_subrev_co_u32_e64 v12, s[0:1], s18, v9
	v_subbrev_co_u32_e64 v11, s[0:1], 0, v11, s[0:1]
	v_cmp_le_u32_e64 s[0:1], s19, v11
	v_cndmask_b32_e64 v13, 0, -1, s[0:1]
	v_cmp_le_u32_e64 s[0:1], s18, v12
	v_cndmask_b32_e64 v12, 0, -1, s[0:1]
	v_cmp_eq_u32_e64 s[0:1], s19, v11
	v_cndmask_b32_e64 v11, v13, v12, s[0:1]
	v_add_co_u32_e64 v12, s[0:1], 2, v2
	v_addc_co_u32_e64 v13, s[0:1], 0, v6, s[0:1]
	v_add_co_u32_e64 v14, s[0:1], 1, v2
	v_addc_co_u32_e64 v15, s[0:1], 0, v6, s[0:1]
	v_subb_co_u32_e32 v10, vcc, v8, v10, vcc
	v_cmp_ne_u32_e64 s[0:1], 0, v11
	v_cmp_le_u32_e32 vcc, s19, v10
	v_cndmask_b32_e64 v11, v15, v13, s[0:1]
	v_cndmask_b32_e64 v13, 0, -1, vcc
	v_cmp_le_u32_e32 vcc, s18, v9
	v_cndmask_b32_e64 v9, 0, -1, vcc
	v_cmp_eq_u32_e32 vcc, s19, v10
	v_cndmask_b32_e32 v9, v13, v9, vcc
	v_cmp_ne_u32_e32 vcc, 0, v9
	v_cndmask_b32_e32 v10, v6, v11, vcc
	v_cndmask_b32_e64 v6, v14, v12, s[0:1]
	v_cndmask_b32_e32 v9, v2, v6, vcc
.LBB0_4:                                ;   in Loop: Header=BB0_2 Depth=1
	s_andn2_saveexec_b64 s[0:1], s[20:21]
	s_cbranch_execz .LBB0_6
; %bb.5:                                ;   in Loop: Header=BB0_2 Depth=1
	v_cvt_f32_u32_e32 v2, s18
	s_sub_i32 s20, 0, s18
	v_rcp_iflag_f32_e32 v2, v2
	v_mul_f32_e32 v2, 0x4f7ffffe, v2
	v_cvt_u32_f32_e32 v2, v2
	v_mul_lo_u32 v6, s20, v2
	v_mul_hi_u32 v6, v2, v6
	v_add_u32_e32 v2, v2, v6
	v_mul_hi_u32 v2, v7, v2
	v_mul_lo_u32 v6, v2, s18
	v_add_u32_e32 v9, 1, v2
	v_sub_u32_e32 v6, v7, v6
	v_subrev_u32_e32 v10, s18, v6
	v_cmp_le_u32_e32 vcc, s18, v6
	v_cndmask_b32_e32 v6, v6, v10, vcc
	v_cndmask_b32_e32 v2, v2, v9, vcc
	v_add_u32_e32 v9, 1, v2
	v_cmp_le_u32_e32 vcc, s18, v6
	v_cndmask_b32_e32 v9, v2, v9, vcc
	v_mov_b32_e32 v10, v5
.LBB0_6:                                ;   in Loop: Header=BB0_2 Depth=1
	s_or_b64 exec, exec, s[0:1]
	v_mul_lo_u32 v2, v10, s18
	v_mul_lo_u32 v6, v9, s19
	v_mad_u64_u32 v[11:12], s[0:1], v9, s18, 0
	s_load_dwordx2 s[0:1], s[6:7], 0x0
	s_add_u32 s14, s14, 1
	v_add3_u32 v2, v12, v6, v2
	v_sub_co_u32_e32 v6, vcc, v7, v11
	v_subb_co_u32_e32 v2, vcc, v8, v2, vcc
	s_waitcnt lgkmcnt(0)
	v_mul_lo_u32 v2, s0, v2
	v_mul_lo_u32 v7, s1, v6
	v_mad_u64_u32 v[3:4], s[0:1], s0, v6, v[3:4]
	s_addc_u32 s15, s15, 0
	s_add_u32 s6, s6, 8
	v_add3_u32 v4, v7, v4, v2
	v_mov_b32_e32 v6, s10
	v_mov_b32_e32 v7, s11
	s_addc_u32 s7, s7, 0
	v_cmp_ge_u64_e32 vcc, s[14:15], v[6:7]
	s_add_u32 s16, s16, 8
	s_addc_u32 s17, s17, 0
	s_cbranch_vccnz .LBB0_8
; %bb.7:                                ;   in Loop: Header=BB0_2 Depth=1
	v_mov_b32_e32 v7, v9
	v_mov_b32_e32 v8, v10
	s_branch .LBB0_2
.LBB0_8:
	s_lshl_b64 s[0:1], s[10:11], 3
	s_add_u32 s0, s12, s0
	s_addc_u32 s1, s13, s1
	s_load_dwordx2 s[0:1], s[0:1], 0x0
	s_mov_b32 s6, 0xaaaaaaab
	v_mul_hi_u32 v5, v1, s6
	s_waitcnt lgkmcnt(0)
	v_mul_lo_u32 v6, s0, v10
	v_mul_lo_u32 v7, s1, v9
	v_mad_u64_u32 v[2:3], s[0:1], s0, v9, v[3:4]
	s_load_dwordx2 s[0:1], s[4:5], 0x20
	s_mov_b32 s4, 0x3c3c3c4
	v_lshrrev_b32_e32 v4, 1, v5
	v_mul_hi_u32 v5, v0, s4
	v_lshl_add_u32 v4, v4, 1, v4
	v_add3_u32 v3, v7, v3, v6
	v_sub_u32_e32 v1, v1, v4
	v_mul_u32_u24_e32 v4, 0x44, v5
	v_mul_u32_u24_e32 v1, 0x3b9, v1
	s_waitcnt lgkmcnt(0)
	v_cmp_gt_u64_e32 vcc, s[0:1], v[9:10]
	v_sub_u32_e32 v0, v0, v4
	v_lshlrev_b64 v[2:3], 2, v[2:3]
	v_lshlrev_b32_e32 v28, 2, v1
	v_lshlrev_b32_e32 v25, 2, v0
	s_and_saveexec_b64 s[4:5], vcc
	s_cbranch_execz .LBB0_10
; %bb.9:
	v_mov_b32_e32 v1, 0
	v_mov_b32_e32 v4, s3
	v_add_co_u32_e64 v6, s[0:1], s2, v2
	v_addc_co_u32_e64 v7, s[0:1], v4, v3, s[0:1]
	v_lshlrev_b64 v[4:5], 2, v[0:1]
	v_add_co_u32_e64 v4, s[0:1], v6, v4
	v_addc_co_u32_e64 v5, s[0:1], v7, v5, s[0:1]
	global_load_dword v1, v[4:5], off
	global_load_dword v6, v[4:5], off offset:272
	global_load_dword v7, v[4:5], off offset:544
	;; [unrolled: 1-line block ×13, first 2 shown]
	v_add3_u32 v4, 0, v28, v25
	v_add_u32_e32 v5, 0x400, v4
	v_add_u32_e32 v19, 0x800, v4
	;; [unrolled: 1-line block ×3, first 2 shown]
	s_waitcnt vmcnt(12)
	ds_write2_b32 v4, v1, v6 offset1:68
	s_waitcnt vmcnt(10)
	ds_write2_b32 v4, v7, v8 offset0:136 offset1:204
	s_waitcnt vmcnt(8)
	ds_write2_b32 v5, v9, v10 offset0:16 offset1:84
	;; [unrolled: 2-line block ×6, first 2 shown]
.LBB0_10:
	s_or_b64 exec, exec, s[4:5]
	v_add_u32_e32 v1, 0, v25
	v_add_u32_e32 v27, v1, v28
	v_add_u32_e32 v1, 0xc00, v27
	s_waitcnt lgkmcnt(0)
	s_barrier
	ds_read2_b32 v[10:11], v27 offset0:56 offset1:112
	ds_read2_b32 v[8:9], v1 offset0:72 offset1:128
	v_add_u32_e32 v26, 0, v28
	v_add_u32_e32 v24, v26, v25
	ds_read_b32 v35, v24
	v_add_u32_e32 v31, 0xa00, v27
	ds_read2_b32 v[12:13], v31 offset0:88 offset1:144
	ds_read2_b32 v[14:15], v27 offset0:168 offset1:224
	s_waitcnt lgkmcnt(3)
	v_pk_add_f16 v1, v10, v9 neg_lo:[0,1] neg_hi:[0,1]
	s_mov_b32 s17, 0xbbf7
	v_pk_add_f16 v29, v9, v10
	s_movk_i32 s7, 0x2de8
	v_mul_f16_sdwa v50, v1, s17 dst_sel:DWORD dst_unused:UNUSED_PAD src0_sel:WORD_1 src1_sel:DWORD
	v_pk_add_f16 v30, v11, v8 neg_lo:[0,1] neg_hi:[0,1]
	s_mov_b32 s11, 0xb1e1
	v_fma_f16 v4, v29, s7, v50
	s_mov_b32 s6, 0xbbb2
	v_pk_add_f16 v32, v8, v11
	s_mov_b32 s12, 0xbbdd
	v_mul_f16_sdwa v53, v30, s11 dst_sel:DWORD dst_unused:UNUSED_PAD src0_sel:WORD_1 src1_sel:DWORD
	v_add_u32_e32 v38, 0x800, v27
	s_waitcnt lgkmcnt(2)
	v_add_f16_e32 v4, v35, v4
	s_mov_b32 s10, 0xb461
	v_fma_f16 v5, v32, s12, v53
	v_mul_f16_sdwa v56, v1, s6 dst_sel:DWORD dst_unused:UNUSED_PAD src0_sel:WORD_1 src1_sel:DWORD
	s_movk_i32 s29, 0x3836
	v_add_u32_e32 v40, 0x400, v27
	ds_read2_b32 v[16:17], v38 offset0:104 offset1:160
	ds_read2_b32 v[18:19], v40 offset0:24 offset1:80
	v_add_f16_e32 v4, v5, v4
	v_fma_f16 v5, v29, s10, v56
	s_mov_b32 s13, 0xbacd
	v_mul_f16_sdwa v59, v30, s29 dst_sel:DWORD dst_unused:UNUSED_PAD src0_sel:WORD_1 src1_sel:DWORD
	s_movk_i32 s28, 0x3bb2
	s_waitcnt lgkmcnt(2)
	v_pk_add_f16 v37, v14, v13 neg_lo:[0,1] neg_hi:[0,1]
	v_add_f16_e32 v5, v35, v5
	v_fma_f16 v6, v32, s13, v59
	v_pk_add_f16 v41, v13, v14
	v_mul_f16_sdwa v54, v37, s28 dst_sel:DWORD dst_unused:UNUSED_PAD src0_sel:WORD_1 src1_sel:DWORD
	s_movk_i32 s14, 0x3964
	v_add_f16_e32 v5, v6, v5
	v_fma_f16 v6, v41, s10, v54
	s_movk_i32 s15, 0x39e9
	v_mul_f16_sdwa v62, v37, s14 dst_sel:DWORD dst_unused:UNUSED_PAD src0_sel:WORD_1 src1_sel:DWORD
	s_movk_i32 s16, 0x35c8
	v_pk_add_f16 v42, v15, v12 neg_lo:[0,1] neg_hi:[0,1]
	v_add_f16_e32 v4, v6, v4
	v_fma_f16 v6, v41, s15, v62
	s_movk_i32 s19, 0x3b76
	v_pk_add_f16 v43, v12, v15
	v_mul_f16_sdwa v55, v42, s16 dst_sel:DWORD dst_unused:UNUSED_PAD src0_sel:WORD_1 src1_sel:DWORD
	s_mov_b32 s24, 0xbb29
	v_add_f16_e32 v5, v6, v5
	v_fma_f16 v6, v43, s19, v55
	s_movk_i32 s18, 0x3722
	v_mul_f16_sdwa v67, v42, s24 dst_sel:DWORD dst_unused:UNUSED_PAD src0_sel:WORD_1 src1_sel:DWORD
	s_waitcnt lgkmcnt(0)
	v_pk_add_f16 v44, v18, v17 neg_lo:[0,1] neg_hi:[0,1]
	v_add_f16_e32 v4, v6, v4
	v_fma_f16 v6, v43, s18, v67
	v_pk_add_f16 v45, v17, v18
	v_mul_f16_sdwa v57, v44, s24 dst_sel:DWORD dst_unused:UNUSED_PAD src0_sel:WORD_1 src1_sel:DWORD
	v_add_f16_e32 v5, v6, v5
	v_fma_f16 v6, v45, s18, v57
	v_mul_f16_sdwa v72, v44, s11 dst_sel:DWORD dst_unused:UNUSED_PAD src0_sel:WORD_1 src1_sel:DWORD
	s_mov_b32 s21, 0xb836
	v_pk_add_f16 v46, v19, v16 neg_lo:[0,1] neg_hi:[0,1]
	v_add_f16_e32 v4, v6, v4
	v_fma_f16 v6, v45, s12, v72
	v_pk_add_f16 v47, v16, v19
	v_mul_f16_sdwa v60, v46, s21 dst_sel:DWORD dst_unused:UNUSED_PAD src0_sel:WORD_1 src1_sel:DWORD
	v_add_f16_e32 v5, v6, v5
	v_fma_f16 v6, v47, s13, v60
	v_add_f16_e32 v4, v6, v4
	v_add_u32_e32 v6, 0x600, v27
	ds_read2_b32 v[20:21], v6 offset0:120 offset1:176
	ds_read2_b32 v[22:23], v40 offset0:136 offset1:192
	s_movk_i32 s20, 0x3bf7
	v_mul_f16_sdwa v75, v46, s20 dst_sel:DWORD dst_unused:UNUSED_PAD src0_sel:WORD_1 src1_sel:DWORD
	s_movk_i32 s30, 0x3a62
	v_fma_f16 v6, v47, s7, v75
	s_waitcnt lgkmcnt(0)
	v_pk_add_f16 v48, v22, v21 neg_lo:[0,1] neg_hi:[0,1]
	s_mov_b32 s23, 0xb8d2
	v_pk_add_f16 v51, v21, v22
	v_mul_f16_sdwa v65, v48, s30 dst_sel:DWORD dst_unused:UNUSED_PAD src0_sel:WORD_1 src1_sel:DWORD
	s_mov_b32 s25, 0xb5c8
	v_add_f16_e32 v5, v6, v5
	v_fma_f16 v6, v51, s23, v65
	v_mul_f16_sdwa v84, v48, s25 dst_sel:DWORD dst_unused:UNUSED_PAD src0_sel:WORD_1 src1_sel:DWORD
	v_pk_add_f16 v49, v23, v20 neg_lo:[0,1] neg_hi:[0,1]
	v_add_f16_e32 v4, v6, v4
	v_fma_f16 v6, v51, s19, v84
	s_mov_b32 s22, 0xba62
	v_pk_add_f16 v52, v20, v23
	v_mul_f16_sdwa v73, v49, s14 dst_sel:DWORD dst_unused:UNUSED_PAD src0_sel:WORD_1 src1_sel:DWORD
	v_add_f16_e32 v6, v6, v5
	v_fma_f16 v5, v52, s15, v73
	v_mul_f16_sdwa v90, v49, s22 dst_sel:DWORD dst_unused:UNUSED_PAD src0_sel:WORD_1 src1_sel:DWORD
	s_mov_b32 s27, 0xb964
	v_add_f16_e32 v5, v5, v4
	v_fma_f16 v4, v52, s23, v90
	v_mul_f16_sdwa v69, v1, s27 dst_sel:DWORD dst_unused:UNUSED_PAD src0_sel:WORD_1 src1_sel:DWORD
	v_add_f16_e32 v4, v4, v6
	v_fma_f16 v6, v29, s15, v69
	v_mul_f16_sdwa v70, v30, s17 dst_sel:DWORD dst_unused:UNUSED_PAD src0_sel:WORD_1 src1_sel:DWORD
	v_add_f16_e32 v6, v35, v6
	v_fma_f16 v7, v32, s7, v70
	v_lshrrev_b32_e32 v58, 16, v29
	v_mul_f16_e32 v76, 0xbb29, v1
	v_add_f16_e32 v6, v7, v6
	v_fma_f16 v7, v58, s18, -v76
	v_lshrrev_b32_e32 v61, 16, v32
	v_mul_f16_e32 v78, 0xba62, v30
	v_add_f16_sdwa v7, v35, v7 dst_sel:DWORD dst_unused:UNUSED_PAD src0_sel:WORD_1 src1_sel:DWORD
	v_fma_f16 v33, v61, s23, -v78
	v_mul_f16_e32 v92, 0xbbf7, v1
	v_add_f16_e32 v7, v33, v7
	v_fma_f16 v33, v58, s7, -v92
	v_mul_f16_e32 v91, 0xb1e1, v30
	v_add_f16_sdwa v33, v35, v33 dst_sel:DWORD dst_unused:UNUSED_PAD src0_sel:WORD_1 src1_sel:DWORD
	v_fma_f16 v34, v61, s12, -v91
	v_mul_f16_e32 v115, 0xbbb2, v1
	v_add_f16_e32 v33, v34, v33
	v_fma_f16 v34, v58, s10, -v115
	v_mul_f16_e32 v116, 0x3836, v30
	v_add_f16_sdwa v34, v35, v34 dst_sel:DWORD dst_unused:UNUSED_PAD src0_sel:WORD_1 src1_sel:DWORD
	v_fma_f16 v36, v61, s13, -v116
	v_mul_f16_sdwa v74, v37, s22 dst_sel:DWORD dst_unused:UNUSED_PAD src0_sel:WORD_1 src1_sel:DWORD
	v_add_f16_e32 v34, v36, v34
	v_fma_f16 v36, v41, s23, v74
	v_lshrrev_b32_e32 v63, 16, v41
	v_mul_f16_e32 v80, 0x31e1, v37
	v_add_f16_e32 v6, v36, v6
	v_fma_f16 v36, v63, s12, -v80
	v_mul_f16_e32 v95, 0x3bb2, v37
	v_add_f16_e32 v7, v36, v7
	v_fma_f16 v36, v63, s10, -v95
	v_mul_f16_e32 v117, 0x3964, v37
	v_add_f16_e32 v33, v36, v33
	v_fma_f16 v36, v63, s15, -v117
	v_mul_f16_sdwa v77, v42, s11 dst_sel:DWORD dst_unused:UNUSED_PAD src0_sel:WORD_1 src1_sel:DWORD
	v_add_f16_e32 v34, v36, v34
	v_fma_f16 v36, v43, s12, v77
	v_lshrrev_b32_e32 v64, 16, v43
	v_mul_f16_e32 v83, 0x3bb2, v42
	v_add_f16_e32 v6, v36, v6
	v_fma_f16 v36, v64, s10, -v83
	v_mul_f16_e32 v99, 0x35c8, v42
	v_add_f16_e32 v7, v36, v7
	v_fma_f16 v36, v64, s19, -v99
	v_mul_f16_e32 v119, 0xbb29, v42
	v_add_f16_e32 v33, v36, v33
	v_fma_f16 v36, v64, s18, -v119
	v_mul_f16_sdwa v79, v44, s29 dst_sel:DWORD dst_unused:UNUSED_PAD src0_sel:WORD_1 src1_sel:DWORD
	v_add_f16_e32 v34, v36, v34
	v_fma_f16 v36, v45, s13, v79
	v_lshrrev_b32_e32 v66, 16, v45
	v_mul_f16_e32 v86, 0x3964, v44
	v_add_f16_e32 v6, v36, v6
	v_fma_f16 v36, v66, s15, -v86
	v_mul_f16_e32 v103, 0xbb29, v44
	v_add_f16_e32 v7, v36, v7
	v_fma_f16 v36, v66, s18, -v103
	v_mul_f16_e32 v120, 0xb1e1, v44
	v_add_f16_e32 v33, v36, v33
	v_fma_f16 v36, v66, s12, -v120
	v_mul_f16_sdwa v82, v46, s28 dst_sel:DWORD dst_unused:UNUSED_PAD src0_sel:WORD_1 src1_sel:DWORD
	v_add_f16_e32 v34, v36, v34
	v_fma_f16 v36, v47, s10, v82
	v_lshrrev_b32_e32 v68, 16, v47
	v_mul_f16_e32 v87, 0xb5c8, v46
	v_add_f16_e32 v6, v36, v6
	v_fma_f16 v36, v68, s19, -v87
	v_mul_f16_e32 v104, 0xb836, v46
	v_add_f16_e32 v7, v36, v7
	v_fma_f16 v36, v68, s13, -v104
	v_mul_f16_e32 v121, 0x3bf7, v46
	s_movk_i32 s26, 0x3b29
	v_add_f16_e32 v33, v36, v33
	v_fma_f16 v36, v68, s7, -v121
	v_mul_f16_sdwa v85, v48, s26 dst_sel:DWORD dst_unused:UNUSED_PAD src0_sel:WORD_1 src1_sel:DWORD
	v_add_f16_e32 v34, v36, v34
	v_fma_f16 v36, v51, s18, v85
	v_lshrrev_b32_e32 v71, 16, v51
	v_mul_f16_e32 v89, 0xbbf7, v48
	v_add_f16_e32 v6, v36, v6
	v_fma_f16 v36, v71, s7, -v89
	v_mul_f16_e32 v113, 0x3a62, v48
	v_add_f16_e32 v36, v36, v7
	v_fma_f16 v7, v71, s23, -v113
	;; [unrolled: 3-line block ×3, first 2 shown]
	v_lshrrev_b32_e32 v81, 16, v52
	v_mul_f16_e32 v105, 0xb836, v49
	v_add_f16_e32 v39, v7, v34
	s_mov_b32 s0, 0x39e93722
	v_fma_f16 v34, v81, s13, -v105
	v_mul_f16_e32 v118, 0x3964, v49
	s_mov_b32 s1, 0xbb29b964
	s_mov_b32 s4, 0x2de8b8d2
	v_mul_f16_sdwa v88, v49, s16 dst_sel:DWORD dst_unused:UNUSED_PAD src0_sel:WORD_1 src1_sel:DWORD
	v_pk_mul_f16 v106, v29, s0
	v_add_f16_e32 v34, v34, v36
	v_fma_f16 v36, v81, s15, -v118
	v_mul_f16_e32 v123, 0xba62, v49
	s_mov_b32 s5, 0xba62bbf7
	s_mov_b32 s31, 0xb8d2bbdd
	v_fma_f16 v7, v52, s19, v88
	v_pk_fma_f16 v93, v1, s1, v106 op_sel:[0,0,1] op_sel_hi:[1,1,0]
	v_pk_mul_f16 v107, v32, s4
	v_add_f16_e32 v36, v36, v33
	v_fma_f16 v33, v81, s23, -v123
	v_pk_fma_f16 v106, v1, s1, v106 op_sel:[0,0,1] op_sel_hi:[1,1,0] neg_lo:[1,0,0] neg_hi:[1,0,0]
	s_mov_b32 s33, 0x31e1ba62
	s_mov_b32 s34, 0xbbddb461
	v_add_f16_e32 v7, v7, v6
	v_pk_fma_f16 v94, v30, s5, v107 op_sel:[0,0,1] op_sel_hi:[1,1,0]
	v_add_f16_sdwa v6, v35, v93 dst_sel:DWORD dst_unused:UNUSED_PAD src0_sel:DWORD src1_sel:WORD_1
	v_pk_mul_f16 v108, v41, s31
	v_add_f16_e32 v33, v33, v39
	v_pk_fma_f16 v107, v30, s5, v107 op_sel:[0,0,1] op_sel_hi:[1,1,0] neg_lo:[1,0,0] neg_hi:[1,0,0]
	v_add_f16_sdwa v39, v35, v106 dst_sel:DWORD dst_unused:UNUSED_PAD src0_sel:WORD_1 src1_sel:DWORD
	s_mov_b32 s35, 0x3bb2b1e1
	s_mov_b32 s36, 0xbacd39e9
	v_add_f16_sdwa v6, v94, v6 dst_sel:DWORD dst_unused:UNUSED_PAD src0_sel:WORD_1 src1_sel:DWORD
	v_pk_fma_f16 v96, v37, s33, v108 op_sel:[0,0,1] op_sel_hi:[1,1,0]
	v_pk_mul_f16 v109, v43, s34
	v_pk_fma_f16 v108, v37, s33, v108 op_sel:[0,0,1] op_sel_hi:[1,1,0] neg_lo:[1,0,0] neg_hi:[1,0,0]
	v_add_f16_e32 v39, v107, v39
	s_mov_b32 s37, 0x39643836
	s_mov_b32 s38, 0xb4613b76
	v_add_f16_sdwa v6, v96, v6 dst_sel:DWORD dst_unused:UNUSED_PAD src0_sel:WORD_1 src1_sel:DWORD
	v_pk_fma_f16 v97, v42, s35, v109 op_sel:[0,0,1] op_sel_hi:[1,1,0]
	v_pk_mul_f16 v110, v45, s36
	v_pk_fma_f16 v109, v42, s35, v109 op_sel:[0,0,1] op_sel_hi:[1,1,0] neg_lo:[1,0,0] neg_hi:[1,0,0]
	v_add_f16_e32 v39, v108, v39
	;; [unrolled: 7-line block ×4, first 2 shown]
	s_mov_b32 s43, 0xb83635c8
	v_add_f16_sdwa v6, v100, v6 dst_sel:DWORD dst_unused:UNUSED_PAD src0_sel:WORD_1 src1_sel:DWORD
	v_pk_fma_f16 v101, v48, s41, v112 op_sel:[0,0,1] op_sel_hi:[1,1,0]
	v_pk_mul_f16 v114, v52, s42
	v_pk_fma_f16 v112, v48, s41, v112 op_sel:[0,0,1] op_sel_hi:[1,1,0] neg_lo:[1,0,0] neg_hi:[1,0,0]
	v_add_f16_e32 v39, v111, v39
	v_add_f16_sdwa v6, v101, v6 dst_sel:DWORD dst_unused:UNUSED_PAD src0_sel:WORD_1 src1_sel:DWORD
	v_pk_fma_f16 v102, v49, s43, v114 op_sel:[0,0,1] op_sel_hi:[1,1,0]
	v_pk_fma_f16 v114, v49, s43, v114 op_sel:[0,0,1] op_sel_hi:[1,1,0] neg_lo:[1,0,0] neg_hi:[1,0,0]
	v_add_f16_e32 v39, v112, v39
	v_add_f16_sdwa v6, v102, v6 dst_sel:DWORD dst_unused:UNUSED_PAD src0_sel:WORD_1 src1_sel:DWORD
	s_movk_i32 s31, 0x31e1
	v_add_f16_e32 v39, v114, v39
	v_cmp_gt_u32_e64 s[0:1], 56, v0
	s_barrier
	s_and_saveexec_b64 s[4:5], s[0:1]
	s_cbranch_execz .LBB0_12
; %bb.11:
	v_mul_f16_e32 v124, 0xb8d2, v58
	v_fma_f16 v125, v1, s30, v124
	v_mul_f16_e32 v126, 0xb461, v61
	v_add_f16_sdwa v125, v35, v125 dst_sel:DWORD dst_unused:UNUSED_PAD src0_sel:WORD_1 src1_sel:DWORD
	v_fma_f16 v127, v30, s6, v126
	v_add_f16_e32 v125, v127, v125
	v_mul_f16_e32 v127, 0x3b76, v63
	v_fma_f16 v128, v37, s16, v127
	v_add_f16_e32 v125, v128, v125
	v_mul_f16_e32 v128, 0xbacd, v64
	;; [unrolled: 3-line block ×6, first 2 shown]
	v_fma_f16 v133, v49, s24, v132
	v_fma_f16 v124, v1, s22, v124
	v_add_f16_e32 v125, v133, v125
	v_mul_f16_sdwa v133, v1, s22 dst_sel:DWORD dst_unused:UNUSED_PAD src0_sel:WORD_1 src1_sel:DWORD
	v_add_f16_sdwa v124, v35, v124 dst_sel:DWORD dst_unused:UNUSED_PAD src0_sel:WORD_1 src1_sel:DWORD
	v_fma_f16 v126, v30, s28, v126
	v_fma_f16 v134, v29, s23, v133
	v_mul_f16_sdwa v135, v30, s28 dst_sel:DWORD dst_unused:UNUSED_PAD src0_sel:WORD_1 src1_sel:DWORD
	v_add_f16_e32 v124, v126, v124
	v_fma_f16 v126, v37, s25, v127
	v_add_f16_e32 v134, v35, v134
	v_fma_f16 v136, v32, s10, v135
	;; [unrolled: 2-line block ×3, first 2 shown]
	v_add_f16_e32 v134, v136, v134
	v_mul_f16_sdwa v136, v37, s25 dst_sel:DWORD dst_unused:UNUSED_PAD src0_sel:WORD_1 src1_sel:DWORD
	v_add_f16_e32 v124, v126, v124
	v_fma_f16 v126, v44, s20, v129
	v_fma_f16 v137, v41, s19, v136
	v_add_f16_e32 v124, v126, v124
	v_fma_f16 v126, v46, s27, v130
	v_add_f16_e32 v134, v137, v134
	v_mul_f16_sdwa v137, v42, s21 dst_sel:DWORD dst_unused:UNUSED_PAD src0_sel:WORD_1 src1_sel:DWORD
	v_add_f16_e32 v124, v126, v124
	v_fma_f16 v126, v48, s11, v131
	v_fma_f16 v138, v43, s13, v137
	v_add_f16_e32 v124, v126, v124
	v_fma_f16 v126, v49, s26, v132
	v_add_f16_e32 v134, v138, v134
	v_mul_f16_sdwa v138, v44, s20 dst_sel:DWORD dst_unused:UNUSED_PAD src0_sel:WORD_1 src1_sel:DWORD
	v_add_f16_e32 v124, v126, v124
	v_fma_f16 v126, v29, s23, -v133
	v_fma_f16 v139, v45, s7, v138
	v_add_f16_e32 v126, v35, v126
	v_fma_f16 v127, v32, s10, -v135
	v_add_f16_e32 v134, v139, v134
	v_mul_f16_sdwa v139, v46, s27 dst_sel:DWORD dst_unused:UNUSED_PAD src0_sel:WORD_1 src1_sel:DWORD
	v_add_f16_e32 v126, v127, v126
	v_fma_f16 v127, v41, s19, -v136
	v_fma_f16 v140, v47, s15, v139
	v_add_f16_e32 v126, v127, v126
	v_fma_f16 v127, v43, s13, -v137
	;; [unrolled: 7-line block ×3, first 2 shown]
	v_add_f16_e32 v134, v141, v134
	v_mul_f16_sdwa v141, v49, s26 dst_sel:DWORD dst_unused:UNUSED_PAD src0_sel:WORD_1 src1_sel:DWORD
	v_add_f16_e32 v126, v127, v126
	v_fma_f16 v127, v51, s12, -v140
	v_add_f16_e32 v126, v127, v126
	v_fma_f16 v127, v52, s18, -v141
	v_add_f16_e32 v126, v127, v126
	v_mul_f16_e32 v127, 0xb461, v58
	v_add_f16_e32 v115, v115, v127
	v_mul_f16_e32 v127, 0xbacd, v61
	v_add_f16_e32 v116, v116, v127
	v_add_f16_sdwa v115, v35, v115 dst_sel:DWORD dst_unused:UNUSED_PAD src0_sel:WORD_1 src1_sel:DWORD
	v_add_f16_e32 v115, v116, v115
	v_mul_f16_e32 v116, 0x39e9, v63
	v_add_f16_e32 v116, v117, v116
	v_add_f16_e32 v115, v116, v115
	v_mul_f16_e32 v116, 0x3722, v64
	v_add_f16_e32 v116, v119, v116
	v_add_f16_e32 v115, v116, v115
	v_mul_f16_e32 v116, 0xbbdd, v66
	v_add_f16_e32 v116, v120, v116
	v_add_f16_e32 v115, v116, v115
	v_mul_f16_e32 v116, 0x2de8, v68
	v_add_f16_e32 v116, v121, v116
	v_add_f16_e32 v115, v116, v115
	v_mul_f16_e32 v116, 0x3b76, v71
	v_add_f16_e32 v116, v122, v116
	v_add_f16_e32 v115, v116, v115
	v_mul_f16_e32 v116, 0xb8d2, v81
	v_add_f16_e32 v116, v123, v116
	v_add_f16_e32 v115, v116, v115
	v_mul_f16_e32 v116, 0xb461, v29
	v_sub_f16_e32 v56, v116, v56
	v_mul_f16_e32 v116, 0xbacd, v32
	v_sub_f16_e32 v59, v116, v59
	v_add_f16_e32 v56, v35, v56
	v_add_f16_e32 v56, v59, v56
	v_mul_f16_e32 v59, 0x39e9, v41
	v_sub_f16_e32 v59, v59, v62
	v_add_f16_e32 v56, v59, v56
	v_mul_f16_e32 v59, 0x3722, v43
	v_sub_f16_e32 v59, v59, v67
	;; [unrolled: 3-line block ×5, first 2 shown]
	v_mul_f16_e32 v84, 0x2de8, v58
	v_add_f16_e32 v84, v92, v84
	v_mul_f16_e32 v92, 0xbbdd, v61
	v_add_f16_e32 v91, v91, v92
	v_add_f16_sdwa v84, v35, v84 dst_sel:DWORD dst_unused:UNUSED_PAD src0_sel:WORD_1 src1_sel:DWORD
	v_add_f16_e32 v84, v91, v84
	v_mul_f16_e32 v91, 0xb461, v63
	v_add_f16_e32 v91, v95, v91
	v_add_f16_e32 v84, v91, v84
	v_mul_f16_e32 v91, 0x3b76, v64
	v_add_f16_e32 v91, v99, v91
	;; [unrolled: 3-line block ×4, first 2 shown]
	v_mul_f16_e32 v67, 0x39e9, v29
	v_add_f16_e32 v56, v59, v56
	v_mul_f16_e32 v59, 0xb8d2, v52
	v_add_f16_e32 v84, v91, v84
	v_mul_f16_e32 v91, 0xb8d2, v71
	v_mul_f16_e32 v75, 0x2de8, v29
	v_sub_f16_e32 v59, v59, v90
	v_mul_f16_e32 v90, 0x2de8, v32
	v_add_f16_e32 v91, v113, v91
	v_sub_f16_e32 v67, v67, v69
	v_mul_f16_e32 v92, 0xbbdd, v32
	v_mul_f16_e32 v95, 0xb8d2, v41
	v_add_f16_e32 v84, v91, v84
	v_mul_f16_e32 v91, 0x39e9, v81
	v_sub_f16_e32 v50, v75, v50
	v_add_f16_e32 v67, v35, v67
	v_sub_f16_e32 v69, v90, v70
	v_mul_f16_e32 v103, 0xb461, v41
	v_mul_f16_e32 v104, 0xbbdd, v43
	v_add_f16_e32 v91, v118, v91
	v_sub_f16_e32 v53, v92, v53
	v_add_f16_e32 v50, v35, v50
	v_add_f16_e32 v67, v69, v67
	v_sub_f16_e32 v69, v95, v74
	v_mul_f16_e32 v116, 0x3b76, v43
	v_add_f16_e32 v84, v91, v84
	v_mul_f16_e32 v91, 0xbacd, v45
	v_add_f16_e32 v50, v53, v50
	v_sub_f16_e32 v54, v103, v54
	v_add_f16_e32 v67, v69, v67
	v_sub_f16_e32 v69, v104, v77
	v_mul_f16_e32 v92, 0x3722, v45
	v_mul_f16_e32 v53, 0xb461, v47
	v_add_f16_e32 v50, v54, v50
	v_sub_f16_e32 v55, v116, v55
	v_add_f16_e32 v67, v69, v67
	v_sub_f16_e32 v69, v91, v79
	v_mul_f16_e32 v116, 0x3722, v51
	v_add_f16_e32 v50, v55, v50
	v_sub_f16_e32 v57, v92, v57
	v_add_f16_e32 v67, v69, v67
	v_sub_f16_e32 v53, v53, v82
	v_add_f16_e32 v50, v57, v50
	v_mul_f16_e32 v57, 0x3b76, v52
	v_add_f16_e32 v53, v53, v67
	v_sub_f16_e32 v67, v116, v85
	v_add_f16_e32 v53, v67, v53
	v_sub_f16_e32 v57, v57, v88
	v_add_f16_e32 v53, v57, v53
	v_mul_f16_e32 v57, 0xb5c8, v1
	v_fma_f16 v67, v58, s19, v57
	v_mul_f16_e32 v69, 0xb964, v30
	v_add_f16_sdwa v67, v35, v67 dst_sel:DWORD dst_unused:UNUSED_PAD src0_sel:WORD_1 src1_sel:DWORD
	v_fma_f16 v70, v61, s15, v69
	v_add_f16_e32 v67, v70, v67
	v_mul_f16_e32 v70, 0xbb29, v37
	v_fma_f16 v74, v63, s18, v70
	v_add_f16_e32 v67, v74, v67
	v_mul_f16_e32 v74, 0xbbf7, v42
	v_mul_f16_e32 v54, 0xbacd, v47
	v_fma_f16 v77, v64, s7, v74
	v_add_f16_e32 v56, v59, v56
	v_mul_f16_e32 v59, 0xb8d2, v61
	v_mul_f16_e32 v92, 0xb8d2, v51
	v_sub_f16_e32 v54, v54, v60
	v_add_f16_e32 v67, v77, v67
	v_mul_f16_e32 v77, 0xbbb2, v44
	v_add_f16_e32 v50, v54, v50
	v_mul_f16_e32 v54, 0x39e9, v52
	v_sub_f16_e32 v65, v92, v65
	v_add_f16_e32 v59, v78, v59
	v_fma_f16 v78, v66, s10, v77
	v_mul_f16_e32 v72, 0x3722, v58
	v_add_f16_e32 v50, v65, v50
	v_sub_f16_e32 v54, v54, v73
	v_add_f16_e32 v67, v78, v67
	v_mul_f16_e32 v78, 0xba62, v46
	v_fma_f16 v142, v52, s18, v141
	v_add_f16_e32 v50, v54, v50
	v_add_f16_e32 v54, v76, v72
	v_fma_f16 v79, v68, s23, v78
	v_add_f16_e32 v134, v142, v134
	v_mul_f16_e32 v142, 0xbacd, v58
	v_mul_f16_e32 v99, 0xbbdd, v63
	v_add_f16_sdwa v54, v35, v54 dst_sel:DWORD dst_unused:UNUSED_PAD src0_sel:WORD_1 src1_sel:DWORD
	v_add_f16_e32 v67, v79, v67
	v_mul_f16_e32 v79, 0xb836, v48
	v_fma_f16 v143, v1, s29, v142
	v_mul_f16_e32 v144, 0x3722, v61
	v_add_f16_e32 v54, v59, v54
	v_add_f16_e32 v59, v80, v99
	v_fma_f16 v80, v71, s13, v79
	v_add_f16_sdwa v143, v35, v143 dst_sel:DWORD dst_unused:UNUSED_PAD src0_sel:WORD_1 src1_sel:DWORD
	v_fma_f16 v145, v30, s24, v144
	v_add_f16_e32 v67, v80, v67
	v_mul_f16_e32 v80, 0xb1e1, v49
	v_pk_add_f16 v10, v35, v10
	v_add_f16_e32 v143, v145, v143
	v_mul_f16_e32 v145, 0x2de8, v63
	v_fma_f16 v82, v81, s12, v80
	v_pk_add_f16 v10, v10, v11
	v_fma_f16 v11, v58, s19, -v57
	v_fma_f16 v146, v37, s20, v145
	v_mul_f16_e32 v113, 0xb461, v64
	v_add_f16_e32 v67, v82, v67
	v_mul_f16_sdwa v82, v1, s25 dst_sel:DWORD dst_unused:UNUSED_PAD src0_sel:WORD_1 src1_sel:DWORD
	v_pk_add_f16 v10, v10, v14
	v_add_f16_sdwa v11, v35, v11 dst_sel:DWORD dst_unused:UNUSED_PAD src0_sel:WORD_1 src1_sel:DWORD
	v_fma_f16 v14, v61, s15, -v69
	v_add_f16_e32 v143, v146, v143
	v_mul_f16_e32 v146, 0xb8d2, v64
	v_mul_f16_e32 v75, 0x39e9, v66
	v_add_f16_e32 v54, v59, v54
	v_add_f16_e32 v59, v83, v113
	v_fma_f16 v83, v29, s19, -v82
	v_mul_f16_sdwa v85, v30, s27 dst_sel:DWORD dst_unused:UNUSED_PAD src0_sel:WORD_1 src1_sel:DWORD
	v_add_f16_e32 v11, v14, v11
	v_fma_f16 v14, v63, s18, -v70
	v_fma_f16 v147, v42, s22, v146
	v_add_f16_e32 v54, v59, v54
	v_add_f16_e32 v59, v86, v75
	;; [unrolled: 1-line block ×3, first 2 shown]
	v_fma_f16 v86, v32, s15, -v85
	v_add_f16_e32 v11, v14, v11
	v_fma_f16 v14, v64, s7, -v74
	v_add_f16_e32 v143, v147, v143
	v_mul_f16_e32 v147, 0x3b76, v66
	v_mul_f16_e32 v103, 0x3b76, v68
	v_add_f16_e32 v83, v86, v83
	v_mul_f16_sdwa v86, v37, s24 dst_sel:DWORD dst_unused:UNUSED_PAD src0_sel:WORD_1 src1_sel:DWORD
	v_add_f16_e32 v11, v14, v11
	v_fma_f16 v14, v66, s10, -v77
	v_fma_f16 v148, v44, s16, v147
	v_add_f16_e32 v54, v59, v54
	v_add_f16_e32 v59, v87, v103
	v_fma_f16 v87, v41, s18, -v86
	v_pk_add_f16 v10, v10, v15
	v_add_f16_e32 v11, v14, v11
	v_fma_f16 v14, v68, s23, -v78
	v_add_f16_e32 v143, v148, v143
	v_mul_f16_e32 v148, 0xbbdd, v68
	v_add_f16_e32 v83, v87, v83
	v_mul_f16_sdwa v87, v42, s17 dst_sel:DWORD dst_unused:UNUSED_PAD src0_sel:WORD_1 src1_sel:DWORD
	v_pk_add_f16 v10, v10, v18
	v_add_f16_e32 v11, v14, v11
	v_fma_f16 v14, v71, s13, -v79
	v_fma_f16 v149, v46, s31, v148
	v_fma_f16 v88, v43, s7, -v87
	v_add_f16_e32 v11, v14, v11
	v_fma_f16 v14, v81, s12, -v80
	v_pk_add_f16 v10, v10, v19
	v_add_f16_e32 v143, v149, v143
	v_mul_f16_e32 v149, 0x39e9, v71
	v_mul_f16_e32 v55, 0x2de8, v71
	v_add_f16_e32 v83, v88, v83
	v_mul_f16_sdwa v88, v44, s6 dst_sel:DWORD dst_unused:UNUSED_PAD src0_sel:WORD_1 src1_sel:DWORD
	v_add_f16_e32 v11, v14, v11
	v_fma_f16 v14, v29, s19, v82
	v_pk_add_f16 v10, v10, v22
	v_fma_f16 v150, v48, s27, v149
	v_add_f16_e32 v55, v89, v55
	v_fma_f16 v89, v45, s10, -v88
	v_add_f16_e32 v14, v35, v14
	v_fma_f16 v15, v32, s15, v85
	v_pk_add_f16 v10, v10, v23
	v_add_f16_e32 v143, v150, v143
	v_mul_f16_e32 v150, 0xb461, v81
	v_add_f16_e32 v83, v89, v83
	v_mul_f16_sdwa v89, v46, s22 dst_sel:DWORD dst_unused:UNUSED_PAD src0_sel:WORD_1 src1_sel:DWORD
	v_add_f16_e32 v14, v15, v14
	v_fma_f16 v15, v41, s18, v86
	v_pk_add_f16 v10, v10, v20
	v_fma_f16 v151, v49, s28, v150
	v_fma_f16 v142, v1, s21, v142
	v_fma_f16 v90, v47, s23, -v89
	v_add_f16_e32 v14, v15, v14
	v_fma_f16 v15, v43, s7, v87
	v_pk_add_f16 v10, v10, v21
	v_add_f16_e32 v143, v151, v143
	v_mul_f16_sdwa v151, v1, s21 dst_sel:DWORD dst_unused:UNUSED_PAD src0_sel:WORD_1 src1_sel:DWORD
	v_add_f16_sdwa v142, v35, v142 dst_sel:DWORD dst_unused:UNUSED_PAD src0_sel:WORD_1 src1_sel:DWORD
	v_fma_f16 v144, v30, s26, v144
	v_add_f16_e32 v83, v90, v83
	v_mul_f16_sdwa v90, v48, s21 dst_sel:DWORD dst_unused:UNUSED_PAD src0_sel:WORD_1 src1_sel:DWORD
	v_add_f16_e32 v14, v15, v14
	v_fma_f16 v15, v45, s10, v88
	v_pk_add_f16 v10, v10, v16
	v_fma_f16 v152, v29, s13, v151
	v_mul_f16_sdwa v153, v30, s26 dst_sel:DWORD dst_unused:UNUSED_PAD src0_sel:WORD_1 src1_sel:DWORD
	v_add_f16_e32 v142, v144, v142
	v_fma_f16 v144, v37, s17, v145
	v_fma_f16 v91, v51, s13, -v90
	v_add_f16_e32 v14, v15, v14
	v_fma_f16 v15, v47, s23, v89
	v_pk_add_f16 v10, v10, v17
	v_add_f16_e32 v152, v35, v152
	v_fma_f16 v154, v32, s18, v153
	v_add_f16_e32 v142, v144, v142
	v_fma_f16 v144, v42, s30, v146
	v_add_f16_e32 v83, v91, v83
	v_mul_f16_sdwa v91, v49, s11 dst_sel:DWORD dst_unused:UNUSED_PAD src0_sel:WORD_1 src1_sel:DWORD
	v_add_f16_e32 v14, v15, v14
	v_fma_f16 v15, v51, s13, v90
	v_pk_add_f16 v10, v10, v12
	v_add_f16_e32 v152, v154, v152
	v_mul_f16_sdwa v154, v37, s17 dst_sel:DWORD dst_unused:UNUSED_PAD src0_sel:WORD_1 src1_sel:DWORD
	v_add_f16_e32 v142, v144, v142
	v_fma_f16 v144, v44, s25, v147
	v_mul_f16_e32 v60, 0xbacd, v81
	v_add_f16_e32 v54, v59, v54
	v_fma_f16 v92, v52, s12, -v91
	v_add_f16_e32 v14, v15, v14
	v_fma_f16 v15, v52, s12, v91
	v_pk_add_f16 v10, v10, v13
	v_fma_f16 v155, v41, s7, v154
	v_add_f16_e32 v142, v144, v142
	v_fma_f16 v144, v46, s11, v148
	v_add_f16_e32 v54, v55, v54
	v_add_f16_e32 v55, v105, v60
	s_mov_b32 s0, 0xffff
	v_add_f16_e32 v83, v92, v83
	v_add_f16_e32 v14, v15, v14
	v_mul_u32_u24_e32 v15, 0x44, v0
	v_pk_add_f16 v8, v10, v8
	v_add_f16_e32 v152, v155, v152
	v_mul_f16_sdwa v155, v42, s30 dst_sel:DWORD dst_unused:UNUSED_PAD src0_sel:WORD_1 src1_sel:DWORD
	v_add_f16_e32 v142, v144, v142
	v_fma_f16 v144, v48, s14, v149
	v_alignbit_b32 v62, v35, v35, 16
	v_add_f16_e32 v54, v55, v54
	v_bfi_b32 v55, s0, v93, v106
	v_add3_u32 v15, 0, v15, v28
	v_pk_add_f16 v8, v8, v9
	v_pack_b32_f16 v9, v83, v67
	v_fma_f16 v156, v43, s23, v155
	v_add_f16_e32 v142, v144, v142
	v_fma_f16 v144, v49, s6, v150
	v_bfi_b32 v59, s0, v94, v107
	ds_write2_b32 v15, v8, v9 offset1:1
	v_pk_add_f16 v8, v62, v55
	v_add_f16_e32 v152, v156, v152
	v_mul_f16_sdwa v156, v44, s25 dst_sel:DWORD dst_unused:UNUSED_PAD src0_sel:WORD_1 src1_sel:DWORD
	v_add_f16_e32 v142, v144, v142
	v_fma_f16 v144, v29, s13, -v151
	v_bfi_b32 v60, s0, v96, v108
	v_pk_add_f16 v8, v59, v8
	v_fma_f16 v157, v45, s19, v156
	v_add_f16_e32 v144, v35, v144
	v_fma_f16 v145, v32, s18, -v153
	v_bfi_b32 v65, s0, v97, v109
	v_pk_add_f16 v8, v60, v8
	v_add_f16_e32 v152, v157, v152
	v_mul_f16_sdwa v157, v46, s11 dst_sel:DWORD dst_unused:UNUSED_PAD src0_sel:WORD_1 src1_sel:DWORD
	v_add_f16_e32 v144, v145, v144
	v_fma_f16 v145, v41, s7, -v154
	v_bfi_b32 v72, s0, v98, v110
	v_pk_add_f16 v8, v65, v8
	v_fma_f16 v158, v47, s12, v157
	v_add_f16_e32 v144, v145, v144
	v_fma_f16 v145, v43, s23, -v155
	v_bfi_b32 v73, s0, v100, v111
	;; [unrolled: 11-line block ×3, first 2 shown]
	v_pk_add_f16 v8, v75, v8
	v_add_f16_e32 v152, v159, v152
	v_mul_f16_sdwa v159, v49, s6 dst_sel:DWORD dst_unused:UNUSED_PAD src0_sel:WORD_1 src1_sel:DWORD
	v_add_f16_e32 v144, v145, v144
	v_fma_f16 v145, v51, s15, -v158
	v_pk_add_f16 v8, v76, v8
	v_add_f16_e32 v144, v145, v144
	v_fma_f16 v145, v52, s10, -v159
	v_alignbit_b32 v9, v54, v8, 16
	v_pack_b32_f16 v8, v53, v8
	v_add_f16_e32 v144, v145, v144
	ds_write2_b32 v15, v8, v9 offset0:2 offset1:3
	v_pack_b32_f16 v8, v56, v115
	v_pack_b32_f16 v9, v50, v84
	ds_write2_b32 v15, v9, v8 offset0:4 offset1:5
	v_pack_b32_f16 v8, v144, v142
	v_pack_b32_f16 v9, v126, v124
	ds_write2_b32 v15, v9, v8 offset0:6 offset1:7
	v_pk_mul_f16 v8, v29, s12 op_sel_hi:[1,0]
	v_pk_fma_f16 v9, v1, s11, v8 op_sel:[0,0,1] op_sel_hi:[1,0,0] neg_lo:[1,0,0] neg_hi:[1,0,0]
	v_pk_mul_f16 v10, v32, s19 op_sel_hi:[1,0]
	v_pk_add_f16 v9, v62, v9
	v_pk_fma_f16 v12, v30, s16, v10 op_sel:[0,0,1] op_sel_hi:[1,0,0] neg_lo:[1,0,0] neg_hi:[1,0,0]
	v_pk_add_f16 v9, v12, v9
	v_pk_mul_f16 v12, v41, s13 op_sel_hi:[1,0]
	v_pk_fma_f16 v13, v37, s21, v12 op_sel:[0,0,1] op_sel_hi:[1,0,0] neg_lo:[1,0,0] neg_hi:[1,0,0]
	v_pk_add_f16 v9, v13, v9
	v_pk_mul_f16 v13, v43, s15 op_sel_hi:[1,0]
	;; [unrolled: 3-line block ×3, first 2 shown]
	v_pk_fma_f16 v1, v1, s11, v8 op_sel:[0,0,1] op_sel_hi:[1,0,0]
	v_pk_fma_f16 v17, v44, s22, v16 op_sel:[0,0,1] op_sel_hi:[1,0,0] neg_lo:[1,0,0] neg_hi:[1,0,0]
	v_pk_add_f16 v1, v62, v1
	v_pk_fma_f16 v8, v30, s16, v10 op_sel:[0,0,1] op_sel_hi:[1,0,0]
	v_pk_add_f16 v9, v17, v9
	v_pk_mul_f16 v17, v47, s18 op_sel_hi:[1,0]
	v_pk_add_f16 v1, v8, v1
	v_pk_fma_f16 v8, v37, s21, v12 op_sel:[0,0,1] op_sel_hi:[1,0,0]
	v_pk_fma_f16 v18, v46, s26, v17 op_sel:[0,0,1] op_sel_hi:[1,0,0] neg_lo:[1,0,0] neg_hi:[1,0,0]
	v_pk_add_f16 v1, v8, v1
	v_pk_fma_f16 v8, v42, s14, v13 op_sel:[0,0,1] op_sel_hi:[1,0,0]
	v_pk_add_f16 v9, v18, v9
	v_pk_mul_f16 v18, v51, s10 op_sel_hi:[1,0]
	v_pk_add_f16 v1, v8, v1
	;; [unrolled: 7-line block ×3, first 2 shown]
	v_pk_fma_f16 v8, v48, s6, v18 op_sel:[0,0,1] op_sel_hi:[1,0,0]
	v_pk_fma_f16 v20, v49, s20, v19 op_sel:[0,0,1] op_sel_hi:[1,0,0] neg_lo:[1,0,0] neg_hi:[1,0,0]
	v_pk_add_f16 v1, v8, v1
	v_pk_fma_f16 v8, v49, s20, v19 op_sel:[0,0,1] op_sel_hi:[1,0,0]
	v_fma_f16 v160, v52, s10, v159
	v_pk_add_f16 v9, v20, v9
	v_pk_add_f16 v1, v8, v1
	v_add_f16_e32 v152, v160, v152
	v_alignbit_b32 v8, v9, v1, 16
	v_alignbit_b32 v1, v1, v9, 16
	ds_write2_b32 v15, v1, v8 offset0:8 offset1:9
	v_pack_b32_f16 v1, v134, v125
	v_pack_b32_f16 v8, v152, v143
	s_mov_b32 s0, 0x5040100
	ds_write2_b32 v15, v8, v1 offset0:10 offset1:11
	v_perm_b32 v1, v36, v5, s0
	v_perm_b32 v8, v33, v4, s0
	ds_write2_b32 v15, v8, v1 offset0:12 offset1:13
	v_perm_b32 v1, v39, v7, s0
	v_perm_b32 v8, v34, v6, s0
	ds_write2_b32 v15, v8, v1 offset0:14 offset1:15
	v_pack_b32_f16 v1, v14, v11
	ds_write_b32 v15, v1 offset:64
.LBB0_12:
	s_or_b64 exec, exec, s[4:5]
	v_add_u32_e32 v1, 0x200, v27
	s_waitcnt lgkmcnt(0)
	s_barrier
	ds_read2_b32 v[12:13], v1 offset0:110 offset1:178
	ds_read2_b32 v[10:11], v40 offset0:118 offset1:220
	;; [unrolled: 1-line block ×5, first 2 shown]
	ds_read_b32 v1, v24
	ds_read_b32 v21, v27 offset:3400
	v_cmp_gt_u32_e64 s[0:1], 34, v0
	s_and_saveexec_b64 s[4:5], s[0:1]
	s_cbranch_execz .LBB0_14
; %bb.13:
	v_add_u32_e32 v4, 0x300, v27
	v_add_u32_e32 v6, 0xa80, v27
	ds_read2_b32 v[4:5], v4 offset0:12 offset1:250
	ds_read2_b32 v[6:7], v6 offset0:8 offset1:246
	s_waitcnt lgkmcnt(1)
	v_lshrrev_b32_e32 v33, 16, v4
	v_lshrrev_b32_e32 v36, 16, v5
	s_waitcnt lgkmcnt(0)
	v_lshrrev_b32_e32 v34, 16, v6
	v_lshrrev_b32_e32 v39, 16, v7
.LBB0_14:
	s_or_b64 exec, exec, s[4:5]
	s_movk_i32 s10, 0xf1
	v_mul_lo_u16_sdwa v18, v0, s10 dst_sel:DWORD dst_unused:UNUSED_PAD src0_sel:BYTE_0 src1_sel:DWORD
	v_lshrrev_b16_e32 v22, 12, v18
	v_add_u16_e32 v20, 0x44, v0
	v_mul_lo_u16_e32 v18, 17, v22
	v_mul_lo_u16_sdwa v29, v20, s10 dst_sel:DWORD dst_unused:UNUSED_PAD src0_sel:BYTE_0 src1_sel:DWORD
	v_sub_u16_e32 v23, v0, v18
	v_mov_b32_e32 v18, 3
	v_lshrrev_b16_e32 v32, 12, v29
	v_mul_u32_u24_sdwa v19, v23, v18 dst_sel:DWORD dst_unused:UNUSED_PAD src0_sel:BYTE_0 src1_sel:DWORD
	v_mul_lo_u16_e32 v35, 17, v32
	v_lshlrev_b32_e32 v19, 2, v19
	v_sub_u16_e32 v35, v20, v35
	global_load_dwordx3 v[29:31], v19, s[8:9]
	v_mul_u32_u24_sdwa v19, v35, v18 dst_sel:DWORD dst_unused:UNUSED_PAD src0_sel:BYTE_0 src1_sel:DWORD
	v_lshlrev_b32_e32 v19, 2, v19
	v_add_u16_e32 v20, 0x88, v0
	global_load_dwordx3 v[40:42], v19, s[8:9]
	v_mul_lo_u16_sdwa v19, v20, s10 dst_sel:DWORD dst_unused:UNUSED_PAD src0_sel:BYTE_0 src1_sel:DWORD
	v_lshrrev_b16_e32 v37, 12, v19
	v_mul_lo_u16_e32 v19, 17, v37
	v_sub_u16_e32 v38, v20, v19
	v_mul_u32_u24_sdwa v18, v38, v18 dst_sel:DWORD dst_unused:UNUSED_PAD src0_sel:BYTE_0 src1_sel:DWORD
	v_lshlrev_b32_e32 v18, 2, v18
	global_load_dwordx3 v[43:45], v18, s[8:9]
	s_waitcnt lgkmcnt(6)
	v_lshrrev_b32_e32 v53, 16, v13
	s_waitcnt lgkmcnt(2)
	v_lshrrev_b32_e32 v54, 16, v14
	v_lshrrev_b32_e32 v55, 16, v17
	s_waitcnt lgkmcnt(0)
	v_lshrrev_b32_e32 v49, 16, v21
	v_lshrrev_b32_e32 v50, 16, v12
	;; [unrolled: 1-line block ×9, first 2 shown]
	s_movk_i32 s11, 0x110
	v_mad_u32_u24 v22, v22, s11, 0
	s_waitcnt vmcnt(0)
	s_barrier
	v_add_u32_e32 v18, 0xcc, v0
	s_mov_b32 s7, 0xf0f1
	s_mov_b32 s6, 0xffff
	v_mul_u32_u24_sdwa v19, v18, s7 dst_sel:DWORD dst_unused:UNUSED_PAD src0_sel:WORD_0 src1_sel:DWORD
	v_mul_f16_sdwa v58, v29, v50 dst_sel:DWORD dst_unused:UNUSED_PAD src0_sel:WORD_1 src1_sel:DWORD
	v_mul_f16_sdwa v59, v29, v12 dst_sel:DWORD dst_unused:UNUSED_PAD src0_sel:WORD_1 src1_sel:DWORD
	;; [unrolled: 1-line block ×10, first 2 shown]
	v_fma_f16 v13, v40, v13, -v64
	v_fma_f16 v14, v41, v14, -v66
	;; [unrolled: 1-line block ×3, first 2 shown]
	v_sub_f16_e32 v14, v8, v14
	v_sub_f16_e32 v17, v13, v17
	v_mul_f16_sdwa v62, v31, v52 dst_sel:DWORD dst_unused:UNUSED_PAD src0_sel:WORD_1 src1_sel:DWORD
	v_mul_f16_sdwa v63, v31, v16 dst_sel:DWORD dst_unused:UNUSED_PAD src0_sel:WORD_1 src1_sel:DWORD
	;; [unrolled: 1-line block ×5, first 2 shown]
	v_mul_f16_sdwa v74, v49, v45 dst_sel:DWORD dst_unused:UNUSED_PAD src0_sel:DWORD src1_sel:WORD_1
	v_mul_f16_sdwa v75, v21, v45 dst_sel:DWORD dst_unused:UNUSED_PAD src0_sel:DWORD src1_sel:WORD_1
	v_fma_f16 v8, v8, 2.0, -v14
	v_fma_f16 v13, v13, 2.0, -v17
	v_mul_f16_sdwa v73, v44, v15 dst_sel:DWORD dst_unused:UNUSED_PAD src0_sel:WORD_1 src1_sel:DWORD
	v_fma_f16 v12, v29, v12, -v58
	v_fma_f16 v29, v29, v50, v59
	v_fma_f16 v11, v30, v11, -v60
	v_fma_f16 v30, v30, v51, v61
	;; [unrolled: 2-line block ×4, first 2 shown]
	v_fma_f16 v15, v44, v15, -v72
	v_fma_f16 v21, v21, v45, -v74
	v_fma_f16 v45, v49, v45, v75
	v_sub_f16_e32 v13, v8, v13
	v_fma_f16 v44, v44, v57, v73
	v_sub_f16_e32 v11, v1, v11
	v_sub_f16_e32 v30, v46, v30
	;; [unrolled: 1-line block ×4, first 2 shown]
	v_fma_f16 v49, v8, 2.0, -v13
	v_sub_f16_e32 v8, v9, v15
	v_sub_f16_e32 v45, v43, v45
	v_fma_f16 v1, v1, 2.0, -v11
	v_fma_f16 v46, v46, 2.0, -v30
	;; [unrolled: 1-line block ×4, first 2 shown]
	v_sub_f16_e32 v15, v48, v44
	v_fma_f16 v43, v43, 2.0, -v45
	v_sub_f16_e32 v45, v8, v45
	v_fma_f16 v40, v40, v53, v65
	v_fma_f16 v41, v41, v54, v67
	;; [unrolled: 1-line block ×3, first 2 shown]
	v_sub_f16_e32 v31, v11, v31
	v_add_f16_e32 v16, v30, v16
	v_sub_f16_e32 v12, v1, v12
	v_sub_f16_e32 v29, v46, v29
	v_fma_f16 v9, v9, 2.0, -v8
	v_fma_f16 v44, v48, 2.0, -v15
	v_fma_f16 v48, v8, 2.0, -v45
	v_mov_b32_e32 v8, 2
	v_fma_f16 v11, v11, 2.0, -v31
	v_fma_f16 v30, v30, 2.0, -v16
	;; [unrolled: 1-line block ×4, first 2 shown]
	v_sub_f16_e32 v41, v47, v41
	v_sub_f16_e32 v42, v40, v42
	v_lshlrev_b32_sdwa v23, v8, v23 dst_sel:DWORD dst_unused:UNUSED_PAD src0_sel:DWORD src1_sel:BYTE_0
	v_fma_f16 v47, v47, 2.0, -v41
	v_fma_f16 v40, v40, 2.0, -v42
	v_add3_u32 v22, v22, v23, v28
	v_pack_b32_f16 v1, v1, v46
	v_pack_b32_f16 v11, v11, v30
	v_sub_f16_e32 v40, v47, v40
	v_sub_f16_e32 v42, v14, v42
	v_add_f16_e32 v17, v41, v17
	ds_write2_b32 v22, v1, v11 offset1:17
	v_pack_b32_f16 v1, v12, v29
	v_pack_b32_f16 v11, v31, v16
	v_fma_f16 v47, v47, 2.0, -v40
	v_fma_f16 v14, v14, 2.0, -v42
	;; [unrolled: 1-line block ×3, first 2 shown]
	v_sub_f16_e32 v21, v10, v21
	ds_write2_b32 v22, v1, v11 offset0:34 offset1:51
	v_mad_u32_u24 v1, v32, s11, 0
	v_lshlrev_b32_sdwa v11, v8, v35 dst_sel:DWORD dst_unused:UNUSED_PAD src0_sel:DWORD src1_sel:BYTE_0
	v_fma_f16 v10, v10, 2.0, -v21
	v_add3_u32 v1, v1, v11, v28
	v_pack_b32_f16 v11, v49, v47
	v_pack_b32_f16 v12, v14, v41
	v_sub_f16_e32 v10, v9, v10
	v_sub_f16_e32 v43, v44, v43
	v_add_f16_e32 v21, v15, v21
	ds_write2_b32 v1, v11, v12 offset1:17
	v_pack_b32_f16 v11, v13, v40
	v_pack_b32_f16 v12, v42, v17
	v_fma_f16 v9, v9, 2.0, -v10
	v_fma_f16 v44, v44, 2.0, -v43
	;; [unrolled: 1-line block ×3, first 2 shown]
	ds_write2_b32 v1, v11, v12 offset0:34 offset1:51
	v_mad_u32_u24 v1, v37, s11, 0
	v_lshlrev_b32_sdwa v11, v8, v38 dst_sel:DWORD dst_unused:UNUSED_PAD src0_sel:DWORD src1_sel:BYTE_0
	v_add3_u32 v1, v1, v11, v28
	v_pack_b32_f16 v9, v9, v44
	v_pack_b32_f16 v11, v48, v15
	ds_write2_b32 v1, v9, v11 offset1:17
	v_pack_b32_f16 v9, v10, v43
	v_pack_b32_f16 v10, v45, v21
	ds_write2_b32 v1, v9, v10 offset0:34 offset1:51
	s_and_saveexec_b64 s[4:5], s[0:1]
	s_cbranch_execz .LBB0_16
; %bb.15:
	v_lshrrev_b32_e32 v1, 20, v19
	v_mul_lo_u16_e32 v1, 17, v1
	v_sub_u16_e32 v1, v18, v1
	v_mul_u32_u24_e32 v9, 3, v1
	v_lshlrev_b32_e32 v9, 2, v9
	global_load_dwordx3 v[9:11], v9, s[8:9]
	v_mul_lo_u16_sdwa v12, v18, s10 dst_sel:DWORD dst_unused:UNUSED_PAD src0_sel:BYTE_0 src1_sel:DWORD
	v_lshrrev_b16_e32 v12, 12, v12
	v_mad_u32_u24 v12, v12, s11, 0
	v_lshlrev_b32_e32 v1, 2, v1
	v_add3_u32 v1, v12, v1, v28
	s_waitcnt vmcnt(0)
	v_mul_f16_sdwa v12, v34, v10 dst_sel:DWORD dst_unused:UNUSED_PAD src0_sel:DWORD src1_sel:WORD_1
	v_mul_f16_sdwa v13, v5, v9 dst_sel:DWORD dst_unused:UNUSED_PAD src0_sel:DWORD src1_sel:WORD_1
	v_mul_f16_sdwa v14, v7, v11 dst_sel:DWORD dst_unused:UNUSED_PAD src0_sel:DWORD src1_sel:WORD_1
	v_mul_f16_sdwa v15, v6, v10 dst_sel:DWORD dst_unused:UNUSED_PAD src0_sel:DWORD src1_sel:WORD_1
	v_mul_f16_sdwa v16, v36, v9 dst_sel:DWORD dst_unused:UNUSED_PAD src0_sel:DWORD src1_sel:WORD_1
	v_mul_f16_sdwa v17, v39, v11 dst_sel:DWORD dst_unused:UNUSED_PAD src0_sel:DWORD src1_sel:WORD_1
	v_fma_f16 v6, v6, v10, -v12
	v_fma_f16 v12, v36, v9, v13
	v_fma_f16 v13, v39, v11, v14
	;; [unrolled: 1-line block ×3, first 2 shown]
	v_fma_f16 v5, v5, v9, -v16
	v_fma_f16 v7, v7, v11, -v17
	v_sub_f16_e32 v6, v4, v6
	v_sub_f16_e32 v9, v12, v13
	v_sub_f16_e32 v10, v33, v10
	v_sub_f16_e32 v7, v5, v7
	v_sub_f16_e32 v11, v6, v9
	v_add_f16_e32 v13, v10, v7
	v_fma_f16 v4, v4, 2.0, -v6
	v_fma_f16 v5, v5, 2.0, -v7
	;; [unrolled: 1-line block ×4, first 2 shown]
	v_sub_f16_e32 v5, v4, v5
	v_sub_f16_e32 v9, v7, v9
	v_fma_f16 v6, v6, 2.0, -v11
	v_fma_f16 v10, v10, 2.0, -v13
	;; [unrolled: 1-line block ×4, first 2 shown]
	v_pack_b32_f16 v6, v6, v10
	v_pack_b32_f16 v4, v4, v7
	;; [unrolled: 1-line block ×4, first 2 shown]
	ds_write2_b32 v1, v4, v6 offset1:17
	ds_write2_b32 v1, v5, v11 offset0:34 offset1:51
.LBB0_16:
	s_or_b64 exec, exec, s[4:5]
	v_mov_b32_e32 v1, 0
	v_lshlrev_b64 v[4:5], 2, v[0:1]
	v_mov_b32_e32 v1, s9
	v_add_co_u32_e64 v6, s[0:1], s8, v4
	v_addc_co_u32_e64 v7, s[0:1], v1, v5, s[0:1]
	v_add_u32_e32 v10, 0x154, v0
	s_movk_i32 s0, 0x79
	v_mul_lo_u16_sdwa v1, v20, s0 dst_sel:DWORD dst_unused:UNUSED_PAD src0_sel:BYTE_0 src1_sel:DWORD
	v_mul_u32_u24_sdwa v13, v10, s7 dst_sel:DWORD dst_unused:UNUSED_PAD src0_sel:WORD_0 src1_sel:DWORD
	v_add_u32_e32 v9, 0x110, v0
	v_lshrrev_b16_e32 v1, 13, v1
	v_lshrrev_b32_e32 v13, 22, v13
	v_mul_lo_u16_e32 v1, 0x44, v1
	v_mul_u32_u24_sdwa v12, v9, s7 dst_sel:DWORD dst_unused:UNUSED_PAD src0_sel:WORD_0 src1_sel:DWORD
	v_mul_lo_u16_e32 v13, 0x44, v13
	v_add_u32_e32 v11, 0x198, v0
	v_sub_u16_e32 v1, v20, v1
	v_lshrrev_b32_e32 v12, 22, v12
	v_sub_u16_e32 v10, v10, v13
	v_lshlrev_b32_e32 v20, 2, v10
	v_mul_u32_u24_sdwa v10, v11, s7 dst_sel:DWORD dst_unused:UNUSED_PAD src0_sel:WORD_0 src1_sel:DWORD
	v_lshlrev_b32_sdwa v1, v8, v1 dst_sel:DWORD dst_unused:UNUSED_PAD src0_sel:DWORD src1_sel:BYTE_0
	v_mul_lo_u16_e32 v8, 0x44, v12
	v_lshrrev_b32_e32 v10, 22, v10
	v_sub_u16_e32 v8, v9, v8
	v_mul_lo_u16_e32 v10, 0x44, v10
	v_lshlrev_b32_e32 v31, 2, v8
	v_lshrrev_b32_e32 v8, 22, v19
	v_sub_u16_e32 v10, v11, v10
	v_mul_lo_u16_e32 v8, 0x44, v8
	s_waitcnt lgkmcnt(0)
	s_barrier
	v_lshlrev_b32_e32 v21, 2, v10
	global_load_dword v22, v20, s[8:9] offset:204
	global_load_dword v23, v21, s[8:9] offset:204
	;; [unrolled: 1-line block ×3, first 2 shown]
	global_load_dword v30, v[6:7], off offset:204
	v_sub_u16_e32 v8, v18, v8
	v_lshlrev_b32_e32 v33, 2, v8
	global_load_dword v32, v31, s[8:9] offset:204
	global_load_dword v34, v33, s[8:9] offset:204
	ds_read2_b32 v[8:9], v27 offset0:68 offset1:136
	ds_read_b32 v39, v24
	ds_read_b32 v40, v27 offset:3536
	v_add_u32_e32 v36, 0x600, v27
	v_add_u32_e32 v35, 0x800, v27
	;; [unrolled: 1-line block ×5, first 2 shown]
	ds_read2_b32 v[10:11], v36 offset0:92 offset1:160
	ds_read2_b32 v[12:13], v35 offset0:100 offset1:168
	;; [unrolled: 1-line block ×5, first 2 shown]
	v_add3_u32 v33, 0, v33, v28
	v_add3_u32 v1, 0, v1, v28
	;; [unrolled: 1-line block ×5, first 2 shown]
	v_add_u32_e32 v1, 0x400, v1
	s_waitcnt vmcnt(0) lgkmcnt(0)
	s_barrier
	s_movk_i32 s0, 0x2b26
	s_movk_i32 s1, 0x3b00
	s_mov_b32 s4, 0xbcab
	s_movk_i32 s5, 0x39e0
	s_movk_i32 s7, 0x3574
	s_mov_b32 s10, 0xb574
	s_movk_i32 s11, 0x370e
	v_pk_mul_f16 v44, v19, v22 op_sel:[0,1]
	v_pk_mul_f16 v43, v40, v23 op_sel:[0,1]
	;; [unrolled: 1-line block ×4, first 2 shown]
	v_pk_fma_f16 v46, v30, v10, v28 op_sel:[0,0,1] op_sel_hi:[1,1,0] neg_lo:[0,0,1] neg_hi:[0,0,1]
	v_pk_fma_f16 v10, v30, v10, v28 op_sel:[0,0,1] op_sel_hi:[1,0,0]
	v_pk_fma_f16 v28, v30, v11, v42 op_sel:[0,0,1] op_sel_hi:[1,1,0] neg_lo:[0,0,1] neg_hi:[0,0,1]
	v_pk_fma_f16 v11, v30, v11, v42 op_sel:[0,0,1] op_sel_hi:[1,0,0]
	;; [unrolled: 2-line block ×3, first 2 shown]
	v_bfi_b32 v11, s6, v28, v11
	v_pk_mul_f16 v28, v34, v13 op_sel:[0,1]
	v_bfi_b32 v23, s6, v30, v23
	v_pk_fma_f16 v30, v34, v13, v28 op_sel:[0,0,1] op_sel_hi:[1,1,0] neg_lo:[0,0,1] neg_hi:[0,0,1]
	v_pk_fma_f16 v13, v34, v13, v28 op_sel:[0,0,1] op_sel_hi:[1,0,0]
	v_pk_mul_f16 v28, v29, v12 op_sel:[0,1]
	v_bfi_b32 v13, s6, v30, v13
	v_pk_fma_f16 v30, v29, v12, v28 op_sel:[0,0,1] op_sel_hi:[1,1,0] neg_lo:[0,0,1] neg_hi:[0,0,1]
	v_pk_fma_f16 v12, v29, v12, v28 op_sel:[0,0,1] op_sel_hi:[1,0,0]
	v_pk_mul_f16 v45, v18, v32 op_sel:[0,1]
	v_bfi_b32 v10, s6, v46, v10
	v_bfi_b32 v12, s6, v30, v12
	v_pk_fma_f16 v40, v19, v22, v44 op_sel:[0,0,1] op_sel_hi:[1,1,0] neg_lo:[0,0,1] neg_hi:[0,0,1]
	v_pk_fma_f16 v19, v19, v22, v44 op_sel:[0,0,1] op_sel_hi:[1,0,0]
	v_pk_fma_f16 v22, v18, v32, v45 op_sel:[0,0,1] op_sel_hi:[1,1,0] neg_lo:[0,0,1] neg_hi:[0,0,1]
	v_pk_fma_f16 v18, v18, v32, v45 op_sel:[0,0,1] op_sel_hi:[1,0,0]
	v_pk_add_f16 v10, v39, v10 neg_lo:[0,1] neg_hi:[0,1]
	v_pk_add_f16 v12, v9, v12 neg_lo:[0,1] neg_hi:[0,1]
	v_bfi_b32 v18, s6, v22, v18
	v_pk_add_f16 v11, v8, v11 neg_lo:[0,1] neg_hi:[0,1]
	v_pk_add_f16 v22, v17, v23 neg_lo:[0,1] neg_hi:[0,1]
	v_pk_fma_f16 v23, v39, 2.0, v10 op_sel_hi:[1,0,1] neg_lo:[0,0,1] neg_hi:[0,0,1]
	v_pk_add_f16 v13, v14, v13 neg_lo:[0,1] neg_hi:[0,1]
	v_pk_fma_f16 v9, v9, 2.0, v12 op_sel_hi:[1,0,1] neg_lo:[0,0,1] neg_hi:[0,0,1]
	v_bfi_b32 v19, s6, v40, v19
	v_pk_add_f16 v18, v15, v18 neg_lo:[0,1] neg_hi:[0,1]
	v_pk_fma_f16 v8, v8, 2.0, v11 op_sel_hi:[1,0,1] neg_lo:[0,0,1] neg_hi:[0,0,1]
	v_pk_fma_f16 v14, v14, 2.0, v13 op_sel_hi:[1,0,1] neg_lo:[0,0,1] neg_hi:[0,0,1]
	ds_write2_b32 v27, v23, v10 offset1:68
	ds_write2_b32 v27, v8, v11 offset0:136 offset1:204
	ds_write2_b32 v1, v9, v12 offset0:16 offset1:84
	v_add_u32_e32 v1, 0x400, v33
	v_pk_add_f16 v19, v16, v19 neg_lo:[0,1] neg_hi:[0,1]
	v_pk_fma_f16 v15, v15, 2.0, v18 op_sel_hi:[1,0,1] neg_lo:[0,0,1] neg_hi:[0,0,1]
	ds_write2_b32 v1, v14, v13 offset0:152 offset1:220
	v_add_u32_e32 v1, 0x800, v31
	v_pk_fma_f16 v16, v16, 2.0, v19 op_sel_hi:[1,0,1] neg_lo:[0,0,1] neg_hi:[0,0,1]
	ds_write2_b32 v1, v15, v18 offset0:32 offset1:100
	v_add_u32_e32 v1, 0x800, v20
	;; [unrolled: 3-line block ×3, first 2 shown]
	ds_write2_b32 v1, v17, v22 offset0:48 offset1:116
	v_mul_u32_u24_e32 v1, 6, v0
	v_lshlrev_b32_e32 v1, 2, v1
	s_waitcnt lgkmcnt(0)
	s_barrier
	global_load_dwordx4 v[8:11], v1, s[8:9] offset:476
	global_load_dwordx2 v[16:17], v1, s[8:9] offset:492
	global_load_dwordx4 v[12:15], v1, s[8:9] offset:2108
	global_load_dwordx2 v[18:19], v1, s[8:9] offset:2124
	ds_read2_b32 v[20:21], v27 offset0:68 offset1:136
	ds_read2_b32 v[22:23], v37 offset0:76 offset1:144
	;; [unrolled: 1-line block ×6, first 2 shown]
	ds_read_b32 v1, v24
	ds_read_b32 v38, v27 offset:3536
	s_waitcnt lgkmcnt(4)
	v_lshrrev_b32_e32 v39, 16, v31
	v_lshrrev_b32_e32 v40, 16, v22
	;; [unrolled: 1-line block ×3, first 2 shown]
	s_waitcnt lgkmcnt(3)
	v_lshrrev_b32_e32 v43, 16, v32
	s_waitcnt lgkmcnt(2)
	v_lshrrev_b32_e32 v44, 16, v34
	v_lshrrev_b32_e32 v45, 16, v30
	s_waitcnt lgkmcnt(0)
	v_lshrrev_b32_e32 v46, 16, v38
	v_lshrrev_b32_e32 v47, 16, v21
	;; [unrolled: 1-line block ×6, first 2 shown]
	s_mov_b32 s6, 0xb9e0
	s_waitcnt vmcnt(0)
	s_barrier
	v_mul_f16_sdwa v52, v8, v47 dst_sel:DWORD dst_unused:UNUSED_PAD src0_sel:WORD_1 src1_sel:DWORD
	v_mul_f16_sdwa v62, v39, v17 dst_sel:DWORD dst_unused:UNUSED_PAD src0_sel:DWORD src1_sel:WORD_1
	v_mul_f16_sdwa v63, v31, v17 dst_sel:DWORD dst_unused:UNUSED_PAD src0_sel:DWORD src1_sel:WORD_1
	;; [unrolled: 1-line block ×3, first 2 shown]
	v_fma_f16 v31, v31, v17, -v62
	v_fma_f16 v17, v39, v17, v63
	v_fma_f16 v39, v22, v12, -v64
	v_mul_f16_sdwa v22, v22, v12 dst_sel:DWORD dst_unused:UNUSED_PAD src0_sel:DWORD src1_sel:WORD_1
	v_fma_f16 v12, v40, v12, v22
	v_mul_f16_sdwa v22, v42, v13 dst_sel:DWORD dst_unused:UNUSED_PAD src0_sel:DWORD src1_sel:WORD_1
	v_fma_f16 v22, v28, v13, -v22
	v_mul_f16_sdwa v28, v28, v13 dst_sel:DWORD dst_unused:UNUSED_PAD src0_sel:DWORD src1_sel:WORD_1
	v_fma_f16 v13, v42, v13, v28
	v_mul_f16_sdwa v28, v43, v14 dst_sel:DWORD dst_unused:UNUSED_PAD src0_sel:DWORD src1_sel:WORD_1
	v_fma_f16 v28, v32, v14, -v28
	v_mul_f16_sdwa v32, v32, v14 dst_sel:DWORD dst_unused:UNUSED_PAD src0_sel:DWORD src1_sel:WORD_1
	v_fma_f16 v14, v43, v14, v32
	v_mul_f16_sdwa v32, v44, v15 dst_sel:DWORD dst_unused:UNUSED_PAD src0_sel:DWORD src1_sel:WORD_1
	v_fma_f16 v32, v34, v15, -v32
	v_mul_f16_sdwa v34, v34, v15 dst_sel:DWORD dst_unused:UNUSED_PAD src0_sel:DWORD src1_sel:WORD_1
	v_fma_f16 v15, v44, v15, v34
	v_mul_f16_sdwa v34, v45, v18 dst_sel:DWORD dst_unused:UNUSED_PAD src0_sel:DWORD src1_sel:WORD_1
	v_fma_f16 v34, v30, v18, -v34
	v_mul_f16_sdwa v30, v30, v18 dst_sel:DWORD dst_unused:UNUSED_PAD src0_sel:DWORD src1_sel:WORD_1
	v_mul_f16_sdwa v53, v8, v21 dst_sel:DWORD dst_unused:UNUSED_PAD src0_sel:WORD_1 src1_sel:DWORD
	v_mul_f16_sdwa v54, v9, v48 dst_sel:DWORD dst_unused:UNUSED_PAD src0_sel:WORD_1 src1_sel:DWORD
	;; [unrolled: 1-line block ×5, first 2 shown]
	v_fma_f16 v18, v45, v18, v30
	v_mul_f16_sdwa v30, v46, v19 dst_sel:DWORD dst_unused:UNUSED_PAD src0_sel:DWORD src1_sel:WORD_1
	v_mul_f16_sdwa v56, v10, v49 dst_sel:DWORD dst_unused:UNUSED_PAD src0_sel:WORD_1 src1_sel:DWORD
	v_mul_f16_sdwa v57, v10, v29 dst_sel:DWORD dst_unused:UNUSED_PAD src0_sel:WORD_1 src1_sel:DWORD
	;; [unrolled: 1-line block ×4, first 2 shown]
	v_fma_f16 v21, v8, v21, -v52
	v_fma_f16 v8, v8, v47, v53
	v_fma_f16 v23, v9, v23, -v54
	v_fma_f16 v9, v9, v48, v55
	v_fma_f16 v35, v16, v35, -v60
	v_fma_f16 v16, v16, v51, v61
	v_fma_f16 v30, v38, v19, -v30
	v_mul_f16_sdwa v38, v38, v19 dst_sel:DWORD dst_unused:UNUSED_PAD src0_sel:DWORD src1_sel:WORD_1
	v_fma_f16 v29, v10, v29, -v56
	v_fma_f16 v10, v10, v49, v57
	v_fma_f16 v33, v11, v33, -v58
	v_fma_f16 v11, v11, v50, v59
	v_fma_f16 v19, v46, v19, v38
	v_add_f16_e32 v38, v21, v31
	v_add_f16_e32 v40, v8, v17
	v_sub_f16_e32 v21, v21, v31
	v_sub_f16_e32 v8, v8, v17
	v_add_f16_e32 v17, v23, v35
	v_add_f16_e32 v31, v9, v16
	v_sub_f16_e32 v23, v23, v35
	v_sub_f16_e32 v9, v9, v16
	;; [unrolled: 4-line block ×4, first 2 shown]
	v_sub_f16_e32 v38, v38, v16
	v_sub_f16_e32 v40, v40, v35
	;; [unrolled: 1-line block ×4, first 2 shown]
	v_add_f16_e32 v44, v29, v23
	v_add_f16_e32 v45, v10, v9
	v_sub_f16_e32 v46, v29, v23
	v_sub_f16_e32 v47, v10, v9
	;; [unrolled: 1-line block ×4, first 2 shown]
	v_add_f16_e32 v11, v16, v11
	v_add_f16_e32 v16, v35, v33
	v_sub_f16_e32 v29, v21, v29
	v_sub_f16_e32 v10, v8, v10
	v_add_f16_e32 v21, v44, v21
	v_add_f16_e32 v8, v45, v8
	;; [unrolled: 1-line block ×3, first 2 shown]
	v_add_f16_sdwa v1, v16, v1 dst_sel:DWORD dst_unused:UNUSED_PAD src0_sel:DWORD src1_sel:WORD_1
	v_mul_f16_e32 v35, 0x3a52, v38
	v_mul_f16_e32 v38, 0x3a52, v40
	;; [unrolled: 1-line block ×8, first 2 shown]
	v_fma_f16 v11, v11, s4, v33
	v_fma_f16 v16, v16, s4, v1
	;; [unrolled: 1-line block ×4, first 2 shown]
	v_fma_f16 v40, v42, s5, -v40
	v_fma_f16 v44, v43, s5, -v44
	v_fma_f16 v35, v42, s6, -v35
	v_fma_f16 v38, v43, s6, -v38
	v_fma_f16 v42, v29, s7, v45
	v_fma_f16 v43, v10, s7, v46
	v_fma_f16 v23, v23, s1, -v45
	v_fma_f16 v9, v9, s1, -v46
	;; [unrolled: 1-line block ×4, first 2 shown]
	v_add_f16_e32 v17, v17, v11
	v_add_f16_e32 v31, v31, v16
	;; [unrolled: 1-line block ×6, first 2 shown]
	v_fma_f16 v35, v21, s11, v42
	v_fma_f16 v38, v8, s11, v43
	v_fma_f16 v23, v21, s11, v23
	v_fma_f16 v9, v8, s11, v9
	v_fma_f16 v21, v21, s11, v29
	v_fma_f16 v8, v8, s11, v10
	v_add_f16_e32 v10, v38, v17
	v_sub_f16_e32 v29, v31, v35
	v_add_f16_e32 v42, v8, v11
	v_sub_f16_e32 v43, v16, v21
	v_sub_f16_e32 v8, v11, v8
	v_add_f16_e32 v11, v21, v16
	v_sub_f16_e32 v16, v17, v38
	v_add_f16_e32 v17, v35, v31
	v_add_f16_e32 v21, v39, v30
	;; [unrolled: 1-line block ×3, first 2 shown]
	v_sub_f16_e32 v12, v12, v19
	v_add_f16_e32 v19, v22, v34
	v_add_f16_e32 v35, v13, v18
	v_sub_f16_e32 v30, v39, v30
	v_sub_f16_e32 v22, v22, v34
	;; [unrolled: 1-line block ×3, first 2 shown]
	v_add_f16_e32 v18, v28, v32
	v_add_f16_e32 v34, v14, v15
	v_sub_f16_e32 v28, v32, v28
	v_sub_f16_e32 v14, v15, v14
	v_add_f16_e32 v15, v19, v21
	v_add_f16_e32 v32, v35, v31
	v_sub_f16_e32 v45, v40, v9
	v_add_f16_e32 v46, v23, v44
	v_add_f16_e32 v9, v9, v40
	v_sub_f16_e32 v23, v44, v23
	v_sub_f16_e32 v38, v19, v21
	;; [unrolled: 1-line block ×7, first 2 shown]
	v_add_f16_e32 v40, v28, v22
	v_add_f16_e32 v44, v14, v13
	v_sub_f16_e32 v47, v28, v22
	v_sub_f16_e32 v48, v14, v13
	;; [unrolled: 1-line block ×4, first 2 shown]
	v_add_f16_e32 v15, v18, v15
	v_add_f16_e32 v18, v34, v32
	v_sub_f16_e32 v28, v30, v28
	v_sub_f16_e32 v14, v12, v14
	v_add_f16_e32 v30, v40, v30
	v_add_f16_e32 v12, v44, v12
	;; [unrolled: 1-line block ×3, first 2 shown]
	v_add_f16_sdwa v20, v18, v20 dst_sel:DWORD dst_unused:UNUSED_PAD src0_sel:DWORD src1_sel:WORD_1
	v_mul_f16_e32 v21, 0x3a52, v21
	v_mul_f16_e32 v31, 0x3a52, v31
	;; [unrolled: 1-line block ×8, first 2 shown]
	v_fma_f16 v15, v15, s4, v32
	v_fma_f16 v18, v18, s4, v20
	;; [unrolled: 1-line block ×4, first 2 shown]
	v_fma_f16 v34, v38, s5, -v34
	v_fma_f16 v40, v39, s5, -v40
	;; [unrolled: 1-line block ×4, first 2 shown]
	v_fma_f16 v38, v28, s7, v44
	v_fma_f16 v39, v14, s7, v47
	v_fma_f16 v13, v13, s1, -v47
	v_fma_f16 v28, v28, s10, -v48
	;; [unrolled: 1-line block ×4, first 2 shown]
	v_add_f16_e32 v19, v19, v15
	v_add_f16_e32 v35, v35, v18
	;; [unrolled: 1-line block ×6, first 2 shown]
	v_fma_f16 v21, v30, s11, v38
	v_fma_f16 v31, v12, s11, v39
	;; [unrolled: 1-line block ×6, first 2 shown]
	v_add_f16_e32 v14, v31, v19
	v_sub_f16_e32 v30, v35, v21
	v_add_f16_e32 v38, v12, v15
	v_sub_f16_e32 v39, v18, v28
	v_sub_f16_e32 v12, v15, v12
	v_add_f16_e32 v15, v28, v18
	v_sub_f16_e32 v18, v19, v31
	v_add_f16_e32 v19, v21, v35
	v_pack_b32_f16 v10, v10, v29
	v_pack_b32_f16 v21, v42, v43
	ds_write2_b32 v37, v10, v21 offset0:8 offset1:144
	v_pack_b32_f16 v10, v45, v46
	v_pack_b32_f16 v9, v9, v23
	ds_write2_b32 v36, v10, v9 offset0:24 offset1:160
	v_pack_b32_f16 v8, v8, v11
	v_pack_b32_f16 v9, v16, v17
	;; [unrolled: 1-line block ×3, first 2 shown]
	ds_write2_b32 v41, v8, v9 offset0:40 offset1:176
	v_pack_b32_f16 v8, v32, v20
	v_sub_f16_e32 v44, v34, v13
	v_add_f16_e32 v47, v22, v40
	v_add_f16_e32 v13, v13, v34
	v_sub_f16_e32 v22, v40, v22
	ds_write2_b32 v27, v1, v8 offset1:68
	v_pack_b32_f16 v1, v14, v30
	v_pack_b32_f16 v8, v38, v39
	ds_write2_b32 v37, v1, v8 offset0:76 offset1:212
	v_pack_b32_f16 v1, v44, v47
	v_pack_b32_f16 v8, v13, v22
	ds_write2_b32 v36, v1, v8 offset0:92 offset1:228
	;; [unrolled: 3-line block ×3, first 2 shown]
	s_waitcnt lgkmcnt(0)
	s_barrier
	ds_read_b32 v11, v24
	v_sub_u32_e32 v1, v26, v25
	v_cmp_ne_u32_e64 s[0:1], 0, v0
                                        ; implicit-def: $vgpr9
                                        ; implicit-def: $vgpr8
                                        ; implicit-def: $vgpr10
	s_and_saveexec_b64 s[4:5], s[0:1]
	s_xor_b64 s[0:1], exec, s[4:5]
	s_cbranch_execz .LBB0_18
; %bb.17:
	global_load_dword v6, v[6:7], off offset:3740
	ds_read_b32 v7, v1 offset:3808
	s_mov_b32 s4, 0xffff
                                        ; implicit-def: $vgpr26
	s_waitcnt lgkmcnt(0)
	v_pk_add_f16 v8, v11, v7 neg_lo:[0,1] neg_hi:[0,1]
	v_pk_add_f16 v7, v7, v11
	v_bfi_b32 v9, s4, v8, v7
	v_bfi_b32 v7, s4, v7, v8
	v_pk_mul_f16 v8, v9, 0.5 op_sel_hi:[1,0]
	v_pk_mul_f16 v9, v7, 0.5 op_sel_hi:[1,0]
                                        ; implicit-def: $vgpr11
	s_waitcnt vmcnt(0)
	v_pk_mul_f16 v10, v6, v8 op_sel:[1,0]
	v_pk_mul_f16 v6, v6, v8 op_sel_hi:[0,1]
	v_pk_fma_f16 v7, v7, 0.5, v10 op_sel_hi:[1,0,1]
	v_sub_f16_e32 v8, v9, v10
	v_sub_f16_sdwa v10, v10, v9 dst_sel:DWORD dst_unused:UNUSED_PAD src0_sel:WORD_1 src1_sel:WORD_1
	v_pk_add_f16 v9, v7, v6 op_sel:[0,1] op_sel_hi:[1,0]
	v_pk_add_f16 v7, v7, v6 op_sel:[0,1] op_sel_hi:[1,0] neg_lo:[0,1] neg_hi:[0,1]
	v_sub_f16_sdwa v8, v8, v6 dst_sel:DWORD dst_unused:UNUSED_PAD src0_sel:DWORD src1_sel:WORD_1
	v_bfi_b32 v9, s4, v9, v7
	v_sub_f16_e32 v10, v10, v6
.LBB0_18:
	s_andn2_saveexec_b64 s[0:1], s[0:1]
	s_cbranch_execz .LBB0_20
; %bb.19:
	ds_read_u16 v6, v26 offset:1906
	s_waitcnt lgkmcnt(1)
	v_alignbit_b32 v7, s0, v11, 16
	v_pk_add_f16 v7, v7, v11
	v_sub_f16_sdwa v8, v11, v11 dst_sel:DWORD dst_unused:UNUSED_PAD src0_sel:DWORD src1_sel:WORD_1
	v_pack_b32_f16 v9, v7, 0
	s_waitcnt lgkmcnt(0)
	v_xor_b32_e32 v6, 0x8000, v6
	v_mov_b32_e32 v10, 0
	ds_write_b16 v26, v6 offset:1906
.LBB0_20:
	s_or_b64 exec, exec, s[0:1]
	s_add_u32 s0, s8, 0xe9c
	s_addc_u32 s1, s9, 0
	v_mov_b32_e32 v7, s1
	v_add_co_u32_e64 v6, s[0:1], s0, v4
	v_addc_co_u32_e64 v7, s[0:1], v7, v5, s[0:1]
	s_waitcnt lgkmcnt(0)
	global_load_dword v11, v[6:7], off offset:272
	global_load_dword v12, v[6:7], off offset:544
	;; [unrolled: 1-line block ×3, first 2 shown]
	ds_write_b16 v1, v10 offset:3810
	ds_write_b32 v24, v9
	ds_write_b16 v1, v8 offset:3808
	ds_read_b32 v8, v24 offset:272
	ds_read_b32 v9, v1 offset:3536
	global_load_dword v10, v[6:7], off offset:1088
	global_load_dword v14, v[6:7], off offset:1360
	global_load_dword v15, v[6:7], off offset:1632
	s_mov_b32 s0, 0xffff
	s_waitcnt lgkmcnt(0)
	v_pk_add_f16 v6, v8, v9 neg_lo:[0,1] neg_hi:[0,1]
	v_pk_add_f16 v7, v8, v9
	v_bfi_b32 v8, s0, v6, v7
	v_bfi_b32 v6, s0, v7, v6
	v_pk_mul_f16 v7, v8, 0.5 op_sel_hi:[1,0]
	v_pk_mul_f16 v8, v6, 0.5 op_sel_hi:[1,0]
	s_waitcnt vmcnt(5)
	v_pk_mul_f16 v9, v11, v7 op_sel:[1,0]
	v_pk_mul_f16 v7, v11, v7 op_sel_hi:[0,1]
	v_pk_fma_f16 v6, v6, 0.5, v9 op_sel_hi:[1,0,1]
	v_sub_f16_e32 v11, v8, v9
	v_sub_f16_sdwa v8, v9, v8 dst_sel:DWORD dst_unused:UNUSED_PAD src0_sel:WORD_1 src1_sel:WORD_1
	v_pk_add_f16 v9, v6, v7 op_sel:[0,1] op_sel_hi:[1,0]
	v_pk_add_f16 v6, v6, v7 op_sel:[0,1] op_sel_hi:[1,0] neg_lo:[0,1] neg_hi:[0,1]
	v_sub_f16_sdwa v11, v11, v7 dst_sel:DWORD dst_unused:UNUSED_PAD src0_sel:DWORD src1_sel:WORD_1
	v_sub_f16_e32 v7, v8, v7
	v_bfi_b32 v6, s0, v9, v6
	ds_write_b16 v1, v7 offset:3538
	ds_write_b32 v24, v6 offset:272
	ds_write_b16 v1, v11 offset:3536
	ds_read_b32 v6, v24 offset:544
	ds_read_b32 v7, v1 offset:3264
	s_waitcnt lgkmcnt(0)
	v_pk_add_f16 v8, v6, v7 neg_lo:[0,1] neg_hi:[0,1]
	v_pk_add_f16 v6, v6, v7
	v_bfi_b32 v7, s0, v8, v6
	v_bfi_b32 v6, s0, v6, v8
	v_pk_mul_f16 v7, v7, 0.5 op_sel_hi:[1,0]
	v_pk_mul_f16 v8, v6, 0.5 op_sel_hi:[1,0]
	s_waitcnt vmcnt(4)
	v_pk_mul_f16 v9, v12, v7 op_sel:[1,0]
	v_pk_mul_f16 v7, v12, v7 op_sel_hi:[0,1]
	v_pk_fma_f16 v6, v6, 0.5, v9 op_sel_hi:[1,0,1]
	v_sub_f16_e32 v11, v8, v9
	v_sub_f16_sdwa v8, v9, v8 dst_sel:DWORD dst_unused:UNUSED_PAD src0_sel:WORD_1 src1_sel:WORD_1
	v_pk_add_f16 v9, v6, v7 op_sel:[0,1] op_sel_hi:[1,0]
	v_pk_add_f16 v6, v6, v7 op_sel:[0,1] op_sel_hi:[1,0] neg_lo:[0,1] neg_hi:[0,1]
	v_sub_f16_sdwa v11, v11, v7 dst_sel:DWORD dst_unused:UNUSED_PAD src0_sel:DWORD src1_sel:WORD_1
	v_sub_f16_e32 v7, v8, v7
	v_bfi_b32 v6, s0, v9, v6
	ds_write_b16 v1, v7 offset:3266
	ds_write_b32 v24, v6 offset:544
	ds_write_b16 v1, v11 offset:3264
	ds_read_b32 v6, v24 offset:816
	ds_read_b32 v7, v1 offset:2992
	;; [unrolled: 23-line block ×4, first 2 shown]
	s_waitcnt lgkmcnt(0)
	v_pk_add_f16 v8, v6, v7 neg_lo:[0,1] neg_hi:[0,1]
	v_pk_add_f16 v6, v6, v7
	v_bfi_b32 v7, s0, v8, v6
	v_bfi_b32 v6, s0, v6, v8
	v_pk_mul_f16 v7, v7, 0.5 op_sel_hi:[1,0]
	v_pk_mul_f16 v6, v6, 0.5 op_sel_hi:[1,0]
	s_waitcnt vmcnt(1)
	v_pk_fma_f16 v8, v14, v7, v6 op_sel:[1,0,0]
	v_pk_mul_f16 v9, v14, v7 op_sel_hi:[0,1]
	v_pk_fma_f16 v10, v14, v7, v6 op_sel:[1,0,0] neg_lo:[1,0,0] neg_hi:[1,0,0]
	v_pk_fma_f16 v6, v14, v7, v6 op_sel:[1,0,0] neg_lo:[0,0,1] neg_hi:[0,0,1]
	v_pk_add_f16 v7, v8, v9 op_sel:[0,1] op_sel_hi:[1,0]
	v_pk_add_f16 v8, v8, v9 op_sel:[0,1] op_sel_hi:[1,0] neg_lo:[0,1] neg_hi:[0,1]
	v_pk_add_f16 v10, v10, v9 op_sel:[0,1] op_sel_hi:[1,0] neg_lo:[0,1] neg_hi:[0,1]
	;; [unrolled: 1-line block ×3, first 2 shown]
	v_bfi_b32 v7, s0, v7, v8
	v_bfi_b32 v6, s0, v10, v6
	ds_write_b32 v24, v7 offset:1360
	ds_write_b32 v1, v6 offset:2448
	ds_read_b32 v6, v24 offset:1632
	ds_read_b32 v7, v1 offset:2176
	s_waitcnt lgkmcnt(0)
	v_pk_add_f16 v8, v6, v7 neg_lo:[0,1] neg_hi:[0,1]
	v_pk_add_f16 v6, v6, v7
	v_bfi_b32 v7, s0, v8, v6
	v_bfi_b32 v6, s0, v6, v8
	v_pk_mul_f16 v7, v7, 0.5 op_sel_hi:[1,0]
	v_pk_mul_f16 v6, v6, 0.5 op_sel_hi:[1,0]
	s_waitcnt vmcnt(0)
	v_pk_fma_f16 v8, v15, v7, v6 op_sel:[1,0,0]
	v_pk_mul_f16 v9, v15, v7 op_sel_hi:[0,1]
	v_pk_fma_f16 v10, v15, v7, v6 op_sel:[1,0,0] neg_lo:[1,0,0] neg_hi:[1,0,0]
	v_pk_fma_f16 v6, v15, v7, v6 op_sel:[1,0,0] neg_lo:[0,0,1] neg_hi:[0,0,1]
	v_pk_add_f16 v7, v8, v9 op_sel:[0,1] op_sel_hi:[1,0]
	v_pk_add_f16 v8, v8, v9 op_sel:[0,1] op_sel_hi:[1,0] neg_lo:[0,1] neg_hi:[0,1]
	v_pk_add_f16 v10, v10, v9 op_sel:[0,1] op_sel_hi:[1,0] neg_lo:[0,1] neg_hi:[0,1]
	;; [unrolled: 1-line block ×3, first 2 shown]
	v_bfi_b32 v7, s0, v7, v8
	v_bfi_b32 v6, s0, v10, v6
	ds_write_b32 v24, v7 offset:1632
	ds_write_b32 v1, v6 offset:2176
	s_waitcnt lgkmcnt(0)
	s_barrier
	s_and_saveexec_b64 s[0:1], vcc
	s_cbranch_execz .LBB0_23
; %bb.21:
	ds_read2_b32 v[6:7], v24 offset1:68
	v_mov_b32_e32 v8, s3
	v_add_co_u32_e32 v1, vcc, s2, v2
	v_addc_co_u32_e32 v2, vcc, v8, v3, vcc
	v_add_co_u32_e32 v3, vcc, v1, v4
	v_addc_co_u32_e32 v4, vcc, v2, v5, vcc
	s_waitcnt lgkmcnt(0)
	global_store_dword v[3:4], v6, off
	ds_read2_b32 v[5:6], v24 offset0:136 offset1:204
	v_add_u32_e32 v10, 0x400, v24
	ds_read2_b32 v[8:9], v10 offset0:16 offset1:84
	ds_read2_b32 v[10:11], v10 offset0:152 offset1:220
	global_store_dword v[3:4], v7, off offset:272
	s_waitcnt lgkmcnt(2)
	global_store_dword v[3:4], v5, off offset:544
	global_store_dword v[3:4], v6, off offset:816
	s_waitcnt lgkmcnt(1)
	global_store_dword v[3:4], v8, off offset:1088
	;; [unrolled: 3-line block ×3, first 2 shown]
	v_add_u32_e32 v7, 0x800, v24
	ds_read2_b32 v[5:6], v7 offset0:32 offset1:100
	ds_read2_b32 v[7:8], v7 offset0:168 offset1:236
	v_add_u32_e32 v9, 0xc00, v24
	s_movk_i32 s0, 0x43
	ds_read2_b32 v[9:10], v9 offset0:48 offset1:116
	v_cmp_eq_u32_e32 vcc, s0, v0
	global_store_dword v[3:4], v11, off offset:1904
	s_waitcnt lgkmcnt(2)
	global_store_dword v[3:4], v5, off offset:2176
	global_store_dword v[3:4], v6, off offset:2448
	s_waitcnt lgkmcnt(1)
	global_store_dword v[3:4], v7, off offset:2720
	;; [unrolled: 3-line block ×3, first 2 shown]
	global_store_dword v[3:4], v10, off offset:3536
	s_and_b64 exec, exec, vcc
	s_cbranch_execz .LBB0_23
; %bb.22:
	ds_read_b32 v0, v24 offset:3540
	s_waitcnt lgkmcnt(0)
	global_store_dword v[1:2], v0, off offset:3808
.LBB0_23:
	s_endpgm
	.section	.rodata,"a",@progbits
	.p2align	6, 0x0
	.amdhsa_kernel fft_rtc_fwd_len952_factors_17_4_2_7_wgs_204_tpt_68_halfLds_half_ip_CI_unitstride_sbrr_R2C_dirReg
		.amdhsa_group_segment_fixed_size 0
		.amdhsa_private_segment_fixed_size 0
		.amdhsa_kernarg_size 88
		.amdhsa_user_sgpr_count 6
		.amdhsa_user_sgpr_private_segment_buffer 1
		.amdhsa_user_sgpr_dispatch_ptr 0
		.amdhsa_user_sgpr_queue_ptr 0
		.amdhsa_user_sgpr_kernarg_segment_ptr 1
		.amdhsa_user_sgpr_dispatch_id 0
		.amdhsa_user_sgpr_flat_scratch_init 0
		.amdhsa_user_sgpr_private_segment_size 0
		.amdhsa_uses_dynamic_stack 0
		.amdhsa_system_sgpr_private_segment_wavefront_offset 0
		.amdhsa_system_sgpr_workgroup_id_x 1
		.amdhsa_system_sgpr_workgroup_id_y 0
		.amdhsa_system_sgpr_workgroup_id_z 0
		.amdhsa_system_sgpr_workgroup_info 0
		.amdhsa_system_vgpr_workitem_id 0
		.amdhsa_next_free_vgpr 161
		.amdhsa_next_free_sgpr 44
		.amdhsa_reserve_vcc 1
		.amdhsa_reserve_flat_scratch 0
		.amdhsa_float_round_mode_32 0
		.amdhsa_float_round_mode_16_64 0
		.amdhsa_float_denorm_mode_32 3
		.amdhsa_float_denorm_mode_16_64 3
		.amdhsa_dx10_clamp 1
		.amdhsa_ieee_mode 1
		.amdhsa_fp16_overflow 0
		.amdhsa_exception_fp_ieee_invalid_op 0
		.amdhsa_exception_fp_denorm_src 0
		.amdhsa_exception_fp_ieee_div_zero 0
		.amdhsa_exception_fp_ieee_overflow 0
		.amdhsa_exception_fp_ieee_underflow 0
		.amdhsa_exception_fp_ieee_inexact 0
		.amdhsa_exception_int_div_zero 0
	.end_amdhsa_kernel
	.text
.Lfunc_end0:
	.size	fft_rtc_fwd_len952_factors_17_4_2_7_wgs_204_tpt_68_halfLds_half_ip_CI_unitstride_sbrr_R2C_dirReg, .Lfunc_end0-fft_rtc_fwd_len952_factors_17_4_2_7_wgs_204_tpt_68_halfLds_half_ip_CI_unitstride_sbrr_R2C_dirReg
                                        ; -- End function
	.section	.AMDGPU.csdata,"",@progbits
; Kernel info:
; codeLenInByte = 12188
; NumSgprs: 48
; NumVgprs: 161
; ScratchSize: 0
; MemoryBound: 0
; FloatMode: 240
; IeeeMode: 1
; LDSByteSize: 0 bytes/workgroup (compile time only)
; SGPRBlocks: 5
; VGPRBlocks: 40
; NumSGPRsForWavesPerEU: 48
; NumVGPRsForWavesPerEU: 161
; Occupancy: 1
; WaveLimiterHint : 1
; COMPUTE_PGM_RSRC2:SCRATCH_EN: 0
; COMPUTE_PGM_RSRC2:USER_SGPR: 6
; COMPUTE_PGM_RSRC2:TRAP_HANDLER: 0
; COMPUTE_PGM_RSRC2:TGID_X_EN: 1
; COMPUTE_PGM_RSRC2:TGID_Y_EN: 0
; COMPUTE_PGM_RSRC2:TGID_Z_EN: 0
; COMPUTE_PGM_RSRC2:TIDIG_COMP_CNT: 0
	.type	__hip_cuid_8edfe6626f6fadd3,@object ; @__hip_cuid_8edfe6626f6fadd3
	.section	.bss,"aw",@nobits
	.globl	__hip_cuid_8edfe6626f6fadd3
__hip_cuid_8edfe6626f6fadd3:
	.byte	0                               ; 0x0
	.size	__hip_cuid_8edfe6626f6fadd3, 1

	.ident	"AMD clang version 19.0.0git (https://github.com/RadeonOpenCompute/llvm-project roc-6.4.0 25133 c7fe45cf4b819c5991fe208aaa96edf142730f1d)"
	.section	".note.GNU-stack","",@progbits
	.addrsig
	.addrsig_sym __hip_cuid_8edfe6626f6fadd3
	.amdgpu_metadata
---
amdhsa.kernels:
  - .args:
      - .actual_access:  read_only
        .address_space:  global
        .offset:         0
        .size:           8
        .value_kind:     global_buffer
      - .offset:         8
        .size:           8
        .value_kind:     by_value
      - .actual_access:  read_only
        .address_space:  global
        .offset:         16
        .size:           8
        .value_kind:     global_buffer
      - .actual_access:  read_only
        .address_space:  global
        .offset:         24
        .size:           8
        .value_kind:     global_buffer
      - .offset:         32
        .size:           8
        .value_kind:     by_value
      - .actual_access:  read_only
        .address_space:  global
        .offset:         40
        .size:           8
        .value_kind:     global_buffer
      - .actual_access:  read_only
        .address_space:  global
        .offset:         48
        .size:           8
        .value_kind:     global_buffer
      - .offset:         56
        .size:           4
        .value_kind:     by_value
      - .actual_access:  read_only
        .address_space:  global
        .offset:         64
        .size:           8
        .value_kind:     global_buffer
      - .actual_access:  read_only
        .address_space:  global
        .offset:         72
        .size:           8
        .value_kind:     global_buffer
      - .address_space:  global
        .offset:         80
        .size:           8
        .value_kind:     global_buffer
    .group_segment_fixed_size: 0
    .kernarg_segment_align: 8
    .kernarg_segment_size: 88
    .language:       OpenCL C
    .language_version:
      - 2
      - 0
    .max_flat_workgroup_size: 204
    .name:           fft_rtc_fwd_len952_factors_17_4_2_7_wgs_204_tpt_68_halfLds_half_ip_CI_unitstride_sbrr_R2C_dirReg
    .private_segment_fixed_size: 0
    .sgpr_count:     48
    .sgpr_spill_count: 0
    .symbol:         fft_rtc_fwd_len952_factors_17_4_2_7_wgs_204_tpt_68_halfLds_half_ip_CI_unitstride_sbrr_R2C_dirReg.kd
    .uniform_work_group_size: 1
    .uses_dynamic_stack: false
    .vgpr_count:     161
    .vgpr_spill_count: 0
    .wavefront_size: 64
amdhsa.target:   amdgcn-amd-amdhsa--gfx906
amdhsa.version:
  - 1
  - 2
...

	.end_amdgpu_metadata
